;; amdgpu-corpus repo=ROCm/rocFFT kind=compiled arch=gfx1030 opt=O3
	.text
	.amdgcn_target "amdgcn-amd-amdhsa--gfx1030"
	.amdhsa_code_object_version 6
	.protected	fft_rtc_back_len1452_factors_11_3_11_4_wgs_132_tpt_132_halfLds_half_op_CI_CI_unitstride_sbrr_R2C_dirReg ; -- Begin function fft_rtc_back_len1452_factors_11_3_11_4_wgs_132_tpt_132_halfLds_half_op_CI_CI_unitstride_sbrr_R2C_dirReg
	.globl	fft_rtc_back_len1452_factors_11_3_11_4_wgs_132_tpt_132_halfLds_half_op_CI_CI_unitstride_sbrr_R2C_dirReg
	.p2align	8
	.type	fft_rtc_back_len1452_factors_11_3_11_4_wgs_132_tpt_132_halfLds_half_op_CI_CI_unitstride_sbrr_R2C_dirReg,@function
fft_rtc_back_len1452_factors_11_3_11_4_wgs_132_tpt_132_halfLds_half_op_CI_CI_unitstride_sbrr_R2C_dirReg: ; @fft_rtc_back_len1452_factors_11_3_11_4_wgs_132_tpt_132_halfLds_half_op_CI_CI_unitstride_sbrr_R2C_dirReg
; %bb.0:
	s_clause 0x2
	s_load_dwordx4 s[12:15], s[4:5], 0x0
	s_load_dwordx4 s[8:11], s[4:5], 0x58
	;; [unrolled: 1-line block ×3, first 2 shown]
	v_mul_u32_u24_e32 v1, 0x1f1, v0
	v_mov_b32_e32 v3, 0
	v_add_nc_u32_sdwa v5, s6, v1 dst_sel:DWORD dst_unused:UNUSED_PAD src0_sel:DWORD src1_sel:WORD_1
	v_mov_b32_e32 v1, 0
	v_mov_b32_e32 v6, v3
	v_mov_b32_e32 v2, 0
	s_waitcnt lgkmcnt(0)
	v_cmp_lt_u64_e64 s0, s[14:15], 2
	s_and_b32 vcc_lo, exec_lo, s0
	s_cbranch_vccnz .LBB0_8
; %bb.1:
	s_load_dwordx2 s[0:1], s[4:5], 0x10
	v_mov_b32_e32 v1, 0
	v_mov_b32_e32 v2, 0
	s_add_u32 s2, s18, 8
	s_addc_u32 s3, s19, 0
	s_add_u32 s6, s16, 8
	s_addc_u32 s7, s17, 0
	v_mov_b32_e32 v9, v2
	v_mov_b32_e32 v8, v1
	s_mov_b64 s[22:23], 1
	s_waitcnt lgkmcnt(0)
	s_add_u32 s20, s0, 8
	s_addc_u32 s21, s1, 0
.LBB0_2:                                ; =>This Inner Loop Header: Depth=1
	s_load_dwordx2 s[24:25], s[20:21], 0x0
                                        ; implicit-def: $vgpr12_vgpr13
	s_mov_b32 s0, exec_lo
	s_waitcnt lgkmcnt(0)
	v_or_b32_e32 v4, s25, v6
	v_cmpx_ne_u64_e32 0, v[3:4]
	s_xor_b32 s1, exec_lo, s0
	s_cbranch_execz .LBB0_4
; %bb.3:                                ;   in Loop: Header=BB0_2 Depth=1
	v_cvt_f32_u32_e32 v4, s24
	v_cvt_f32_u32_e32 v7, s25
	s_sub_u32 s0, 0, s24
	s_subb_u32 s26, 0, s25
	v_fmac_f32_e32 v4, 0x4f800000, v7
	v_rcp_f32_e32 v4, v4
	v_mul_f32_e32 v4, 0x5f7ffffc, v4
	v_mul_f32_e32 v7, 0x2f800000, v4
	v_trunc_f32_e32 v7, v7
	v_fmac_f32_e32 v4, 0xcf800000, v7
	v_cvt_u32_f32_e32 v7, v7
	v_cvt_u32_f32_e32 v4, v4
	v_mul_lo_u32 v10, s0, v7
	v_mul_hi_u32 v11, s0, v4
	v_mul_lo_u32 v12, s26, v4
	v_add_nc_u32_e32 v10, v11, v10
	v_mul_lo_u32 v11, s0, v4
	v_add_nc_u32_e32 v10, v10, v12
	v_mul_hi_u32 v12, v4, v11
	v_mul_lo_u32 v13, v4, v10
	v_mul_hi_u32 v14, v4, v10
	v_mul_hi_u32 v15, v7, v11
	v_mul_lo_u32 v11, v7, v11
	v_mul_hi_u32 v16, v7, v10
	v_mul_lo_u32 v10, v7, v10
	v_add_co_u32 v12, vcc_lo, v12, v13
	v_add_co_ci_u32_e32 v13, vcc_lo, 0, v14, vcc_lo
	v_add_co_u32 v11, vcc_lo, v12, v11
	v_add_co_ci_u32_e32 v11, vcc_lo, v13, v15, vcc_lo
	v_add_co_ci_u32_e32 v12, vcc_lo, 0, v16, vcc_lo
	v_add_co_u32 v10, vcc_lo, v11, v10
	v_add_co_ci_u32_e32 v11, vcc_lo, 0, v12, vcc_lo
	v_add_co_u32 v4, vcc_lo, v4, v10
	v_add_co_ci_u32_e32 v7, vcc_lo, v7, v11, vcc_lo
	v_mul_hi_u32 v10, s0, v4
	v_mul_lo_u32 v12, s26, v4
	v_mul_lo_u32 v11, s0, v7
	v_add_nc_u32_e32 v10, v10, v11
	v_mul_lo_u32 v11, s0, v4
	v_add_nc_u32_e32 v10, v10, v12
	v_mul_hi_u32 v12, v4, v11
	v_mul_lo_u32 v13, v4, v10
	v_mul_hi_u32 v14, v4, v10
	v_mul_hi_u32 v15, v7, v11
	v_mul_lo_u32 v11, v7, v11
	v_mul_hi_u32 v16, v7, v10
	v_mul_lo_u32 v10, v7, v10
	v_add_co_u32 v12, vcc_lo, v12, v13
	v_add_co_ci_u32_e32 v13, vcc_lo, 0, v14, vcc_lo
	v_add_co_u32 v11, vcc_lo, v12, v11
	v_add_co_ci_u32_e32 v11, vcc_lo, v13, v15, vcc_lo
	v_add_co_ci_u32_e32 v12, vcc_lo, 0, v16, vcc_lo
	v_add_co_u32 v10, vcc_lo, v11, v10
	v_add_co_ci_u32_e32 v11, vcc_lo, 0, v12, vcc_lo
	v_add_co_u32 v4, vcc_lo, v4, v10
	v_add_co_ci_u32_e32 v7, vcc_lo, v7, v11, vcc_lo
	v_mul_hi_u32 v16, v5, v4
	v_mad_u64_u32 v[12:13], null, v6, v4, 0
	v_mad_u64_u32 v[10:11], null, v5, v7, 0
	;; [unrolled: 1-line block ×3, first 2 shown]
	v_add_co_u32 v4, vcc_lo, v16, v10
	v_add_co_ci_u32_e32 v7, vcc_lo, 0, v11, vcc_lo
	v_add_co_u32 v4, vcc_lo, v4, v12
	v_add_co_ci_u32_e32 v4, vcc_lo, v7, v13, vcc_lo
	v_add_co_ci_u32_e32 v7, vcc_lo, 0, v15, vcc_lo
	v_add_co_u32 v4, vcc_lo, v4, v14
	v_add_co_ci_u32_e32 v7, vcc_lo, 0, v7, vcc_lo
	v_mul_lo_u32 v12, s25, v4
	v_mad_u64_u32 v[10:11], null, s24, v4, 0
	v_mul_lo_u32 v13, s24, v7
	v_sub_co_u32 v10, vcc_lo, v5, v10
	v_add3_u32 v11, v11, v13, v12
	v_sub_nc_u32_e32 v12, v6, v11
	v_subrev_co_ci_u32_e64 v12, s0, s25, v12, vcc_lo
	v_add_co_u32 v13, s0, v4, 2
	v_add_co_ci_u32_e64 v14, s0, 0, v7, s0
	v_sub_co_u32 v15, s0, v10, s24
	v_sub_co_ci_u32_e32 v11, vcc_lo, v6, v11, vcc_lo
	v_subrev_co_ci_u32_e64 v12, s0, 0, v12, s0
	v_cmp_le_u32_e32 vcc_lo, s24, v15
	v_cmp_eq_u32_e64 s0, s25, v11
	v_cndmask_b32_e64 v15, 0, -1, vcc_lo
	v_cmp_le_u32_e32 vcc_lo, s25, v12
	v_cndmask_b32_e64 v16, 0, -1, vcc_lo
	v_cmp_le_u32_e32 vcc_lo, s24, v10
	;; [unrolled: 2-line block ×3, first 2 shown]
	v_cndmask_b32_e64 v17, 0, -1, vcc_lo
	v_cmp_eq_u32_e32 vcc_lo, s25, v12
	v_cndmask_b32_e64 v10, v17, v10, s0
	v_cndmask_b32_e32 v12, v16, v15, vcc_lo
	v_add_co_u32 v15, vcc_lo, v4, 1
	v_add_co_ci_u32_e32 v16, vcc_lo, 0, v7, vcc_lo
	v_cmp_ne_u32_e32 vcc_lo, 0, v12
	v_cndmask_b32_e32 v11, v16, v14, vcc_lo
	v_cndmask_b32_e32 v12, v15, v13, vcc_lo
	v_cmp_ne_u32_e32 vcc_lo, 0, v10
	v_cndmask_b32_e32 v13, v7, v11, vcc_lo
	v_cndmask_b32_e32 v12, v4, v12, vcc_lo
.LBB0_4:                                ;   in Loop: Header=BB0_2 Depth=1
	s_andn2_saveexec_b32 s0, s1
	s_cbranch_execz .LBB0_6
; %bb.5:                                ;   in Loop: Header=BB0_2 Depth=1
	v_cvt_f32_u32_e32 v4, s24
	s_sub_i32 s1, 0, s24
	v_mov_b32_e32 v13, v3
	v_rcp_iflag_f32_e32 v4, v4
	v_mul_f32_e32 v4, 0x4f7ffffe, v4
	v_cvt_u32_f32_e32 v4, v4
	v_mul_lo_u32 v7, s1, v4
	v_mul_hi_u32 v7, v4, v7
	v_add_nc_u32_e32 v4, v4, v7
	v_mul_hi_u32 v4, v5, v4
	v_mul_lo_u32 v7, v4, s24
	v_add_nc_u32_e32 v10, 1, v4
	v_sub_nc_u32_e32 v7, v5, v7
	v_subrev_nc_u32_e32 v11, s24, v7
	v_cmp_le_u32_e32 vcc_lo, s24, v7
	v_cndmask_b32_e32 v7, v7, v11, vcc_lo
	v_cndmask_b32_e32 v4, v4, v10, vcc_lo
	v_cmp_le_u32_e32 vcc_lo, s24, v7
	v_add_nc_u32_e32 v10, 1, v4
	v_cndmask_b32_e32 v12, v4, v10, vcc_lo
.LBB0_6:                                ;   in Loop: Header=BB0_2 Depth=1
	s_or_b32 exec_lo, exec_lo, s0
	v_mul_lo_u32 v4, v13, s24
	v_mul_lo_u32 v7, v12, s25
	s_load_dwordx2 s[0:1], s[6:7], 0x0
	v_mad_u64_u32 v[10:11], null, v12, s24, 0
	s_load_dwordx2 s[24:25], s[2:3], 0x0
	s_add_u32 s22, s22, 1
	s_addc_u32 s23, s23, 0
	s_add_u32 s2, s2, 8
	s_addc_u32 s3, s3, 0
	s_add_u32 s6, s6, 8
	v_add3_u32 v4, v11, v7, v4
	v_sub_co_u32 v5, vcc_lo, v5, v10
	s_addc_u32 s7, s7, 0
	s_add_u32 s20, s20, 8
	v_sub_co_ci_u32_e32 v4, vcc_lo, v6, v4, vcc_lo
	s_addc_u32 s21, s21, 0
	s_waitcnt lgkmcnt(0)
	v_mul_lo_u32 v6, s0, v4
	v_mul_lo_u32 v7, s1, v5
	v_mad_u64_u32 v[1:2], null, s0, v5, v[1:2]
	v_mul_lo_u32 v4, s24, v4
	v_mul_lo_u32 v10, s25, v5
	v_mad_u64_u32 v[8:9], null, s24, v5, v[8:9]
	v_cmp_ge_u64_e64 s0, s[22:23], s[14:15]
	v_add3_u32 v2, v7, v2, v6
	v_add3_u32 v9, v10, v9, v4
	s_and_b32 vcc_lo, exec_lo, s0
	s_cbranch_vccnz .LBB0_9
; %bb.7:                                ;   in Loop: Header=BB0_2 Depth=1
	v_mov_b32_e32 v5, v12
	v_mov_b32_e32 v6, v13
	s_branch .LBB0_2
.LBB0_8:
	v_mov_b32_e32 v9, v2
	v_mov_b32_e32 v13, v6
	;; [unrolled: 1-line block ×4, first 2 shown]
.LBB0_9:
	s_load_dwordx2 s[0:1], s[4:5], 0x28
	v_mul_hi_u32 v3, 0x1f07c20, v0
	s_lshl_b64 s[4:5], s[14:15], 3
                                        ; implicit-def: $vgpr10
                                        ; implicit-def: $vgpr14
                                        ; implicit-def: $vgpr17
                                        ; implicit-def: $vgpr16
	s_add_u32 s2, s18, s4
	s_addc_u32 s3, s19, s5
	s_waitcnt lgkmcnt(0)
	v_cmp_gt_u64_e32 vcc_lo, s[0:1], v[12:13]
	v_cmp_le_u64_e64 s0, s[0:1], v[12:13]
	s_and_saveexec_b32 s1, s0
	s_xor_b32 s0, exec_lo, s1
; %bb.10:
	v_mul_u32_u24_e32 v1, 0x84, v3
                                        ; implicit-def: $vgpr3
	v_sub_nc_u32_e32 v10, v0, v1
                                        ; implicit-def: $vgpr0
                                        ; implicit-def: $vgpr1_vgpr2
	v_add_nc_u32_e32 v14, 0x84, v10
	v_add_nc_u32_e32 v17, 0x108, v10
	;; [unrolled: 1-line block ×3, first 2 shown]
; %bb.11:
	s_andn2_saveexec_b32 s1, s0
	s_cbranch_execz .LBB0_13
; %bb.12:
	s_add_u32 s4, s16, s4
	s_addc_u32 s5, s17, s5
	v_lshlrev_b64 v[1:2], 2, v[1:2]
	s_load_dwordx2 s[4:5], s[4:5], 0x0
	s_waitcnt lgkmcnt(0)
	v_mul_lo_u32 v6, s5, v12
	v_mul_lo_u32 v7, s4, v13
	v_mad_u64_u32 v[4:5], null, s4, v12, 0
	v_add3_u32 v5, v5, v7, v6
	v_mul_u32_u24_e32 v6, 0x84, v3
	v_lshlrev_b64 v[3:4], 2, v[4:5]
	v_sub_nc_u32_e32 v10, v0, v6
	v_lshlrev_b32_e32 v6, 2, v10
	v_add_co_u32 v0, s0, s8, v3
	v_add_co_ci_u32_e64 v3, s0, s9, v4, s0
	v_add_nc_u32_e32 v14, 0x84, v10
	v_add_co_u32 v0, s0, v0, v1
	v_add_co_ci_u32_e64 v1, s0, v3, v2, s0
	v_add_nc_u32_e32 v17, 0x108, v10
	;; [unrolled: 3-line block ×3, first 2 shown]
	v_add_co_u32 v2, s0, 0x800, v0
	v_add_co_ci_u32_e64 v3, s0, 0, v1, s0
	v_add_co_u32 v4, s0, 0x1000, v0
	v_add_co_ci_u32_e64 v5, s0, 0, v1, s0
	s_clause 0xa
	global_load_dword v7, v[0:1], off
	global_load_dword v11, v[0:1], off offset:528
	global_load_dword v15, v[0:1], off offset:1056
	;; [unrolled: 1-line block ×10, first 2 shown]
	v_add_nc_u32_e32 v5, 0, v6
	v_add_nc_u32_e32 v6, 0x400, v5
	v_add_nc_u32_e32 v21, 0x800, v5
	v_add_nc_u32_e32 v22, 0xc00, v5
	v_add_nc_u32_e32 v23, 0x1000, v5
	s_waitcnt vmcnt(9)
	ds_write2_b32 v5, v7, v11 offset1:132
	s_waitcnt vmcnt(7)
	ds_write2_b32 v6, v15, v0 offset0:8 offset1:140
	s_waitcnt vmcnt(5)
	ds_write2_b32 v21, v1, v18 offset0:16 offset1:148
	;; [unrolled: 2-line block ×4, first 2 shown]
	s_waitcnt vmcnt(0)
	ds_write_b32 v5, v4 offset:5280
.LBB0_13:
	s_or_b32 exec_lo, exec_lo, s1
	v_lshl_add_u32 v26, v10, 2, 0
	s_load_dwordx2 s[2:3], s[2:3], 0x0
	s_waitcnt lgkmcnt(0)
	s_barrier
	buffer_gl0_inv
	ds_read2_b32 v[0:1], v26 offset1:132
	v_add_nc_u32_e32 v2, 0x400, v26
	v_add_nc_u32_e32 v21, 0x1000, v26
	;; [unrolled: 1-line block ×3, first 2 shown]
	ds_read_b32 v11, v26 offset:5280
	ds_read2_b32 v[2:3], v2 offset0:8 offset1:140
	v_add_nc_u32_e32 v18, 0xc00, v26
	ds_read2_b32 v[4:5], v21 offset0:32 offset1:164
	ds_read2_b32 v[6:7], v6 offset0:16 offset1:148
	;; [unrolled: 1-line block ×3, first 2 shown]
	v_mov_b32_e32 v23, 0xb08e
	v_mov_b32_e32 v24, 0xba0c
	;; [unrolled: 1-line block ×9, first 2 shown]
	s_waitcnt lgkmcnt(5)
	v_pk_add_f16 v28, v0, v1
	v_mov_b32_e32 v54, 0x3abb
	v_mad_u32_u24 v27, v10, 40, v26
	s_waitcnt lgkmcnt(0)
	v_pk_add_f16 v29, v1, v11 neg_lo:[0,1] neg_hi:[0,1]
	v_pk_add_f16 v28, v28, v2
	v_pk_add_f16 v1, v11, v1
	;; [unrolled: 1-line block ×3, first 2 shown]
	v_pk_add_f16 v2, v2, v5 neg_lo:[0,1] neg_hi:[0,1]
	v_pk_mul_f16 v30, 0xb853, v29 op_sel_hi:[0,1]
	v_pk_add_f16 v28, v28, v3
	v_mul_f16_sdwa v32, v1, v23 dst_sel:DWORD dst_unused:UNUSED_PAD src0_sel:WORD_1 src1_sel:DWORD
	v_mul_f16_sdwa v33, v29, v24 dst_sel:DWORD dst_unused:UNUSED_PAD src0_sel:WORD_1 src1_sel:DWORD
	;; [unrolled: 1-line block ×3, first 2 shown]
	v_pk_fma_f16 v36, 0x3abb, v1, v30 op_sel:[0,0,1] op_sel_hi:[0,1,0]
	v_pk_add_f16 v28, v28, v6
	v_pk_fma_f16 v30, 0x3abb, v1, v30 op_sel:[0,0,1] op_sel_hi:[0,1,0] neg_lo:[0,0,1] neg_hi:[0,0,1]
	v_mul_f16_sdwa v15, v29, v15 dst_sel:DWORD dst_unused:UNUSED_PAD src0_sel:WORD_1 src1_sel:DWORD
	v_fmamk_f16 v40, v29, 0x3beb, v32
	v_fmac_f16_e32 v32, 0xbbeb, v29
	v_pk_add_f16 v28, v28, v7
	v_fmamk_f16 v41, v1, 0xb93d, v33
	v_fmamk_f16 v42, v29, 0x3a0c, v34
	v_pk_mul_f16 v43, 0xbb47, v2 op_sel_hi:[0,1]
	v_bfi_b32 v44, 0xffff, v36, v30
	v_pk_add_f16 v28, v28, v18
	v_mul_f16_sdwa v31, v1, v20 dst_sel:DWORD dst_unused:UNUSED_PAD src0_sel:WORD_1 src1_sel:DWORD
	v_fmamk_f16 v37, v1, 0x36a6, v15
	v_mul_f16_sdwa v45, v35, v25 dst_sel:DWORD dst_unused:UNUSED_PAD src0_sel:WORD_1 src1_sel:DWORD
	v_mul_f16_sdwa v22, v29, v22 dst_sel:DWORD dst_unused:UNUSED_PAD src0_sel:WORD_1 src1_sel:DWORD
	v_pk_add_f16 v28, v28, v19
	v_fmamk_f16 v38, v29, 0x3b47, v31
	v_fmac_f16_e32 v31, 0xbb47, v29
	v_add_f16_e32 v37, v0, v37
	v_fmamk_f16 v49, v2, 0x3a0c, v45
	v_pk_add_f16 v28, v28, v4
	v_add_f16_sdwa v38, v0, v38 dst_sel:DWORD dst_unused:UNUSED_PAD src0_sel:WORD_1 src1_sel:DWORD
	v_add_f16_sdwa v31, v0, v31 dst_sel:DWORD dst_unused:UNUSED_PAD src0_sel:WORD_1 src1_sel:DWORD
	v_fmac_f16_e32 v45, 0xba0c, v2
	v_fma_f16 v15, v1, 0x36a6, -v15
	v_pk_add_f16 v5, v28, v5
	v_add_f16_sdwa v28, v0, v32 dst_sel:DWORD dst_unused:UNUSED_PAD src0_sel:WORD_1 src1_sel:DWORD
	v_add_f16_e32 v32, v0, v41
	v_add_f16_sdwa v41, v0, v42 dst_sel:DWORD dst_unused:UNUSED_PAD src0_sel:WORD_1 src1_sel:DWORD
	v_pk_add_f16 v42, v0, v44
	v_pk_add_f16 v5, v5, v11
	v_pk_fma_f16 v11, 0x36a6, v35, v43 op_sel:[0,0,1] op_sel_hi:[0,1,0]
	v_pk_fma_f16 v43, 0x36a6, v35, v43 op_sel:[0,0,1] op_sel_hi:[0,1,0] neg_lo:[0,0,1] neg_hi:[0,0,1]
	v_mul_f16_sdwa v44, v2, v24 dst_sel:DWORD dst_unused:UNUSED_PAD src0_sel:WORD_1 src1_sel:DWORD
	v_fmamk_f16 v39, v1, 0xb08e, v22
	v_fma_f16 v22, v1, 0xb08e, -v22
	v_add_f16_sdwa v40, v0, v40 dst_sel:DWORD dst_unused:UNUSED_PAD src0_sel:WORD_1 src1_sel:DWORD
	v_bfi_b32 v46, 0xffff, v11, v43
	v_fmamk_f16 v47, v35, 0xb93d, v44
	v_add_f16_e32 v38, v49, v38
	v_add_f16_e32 v31, v45, v31
	;; [unrolled: 1-line block ×3, first 2 shown]
	v_pk_add_f16 v42, v46, v42
	v_add_f16_e32 v37, v47, v37
	v_mul_f16_sdwa v46, v2, v48 dst_sel:DWORD dst_unused:UNUSED_PAD src0_sel:WORD_1 src1_sel:DWORD
	v_mul_f16_sdwa v47, v35, v50 dst_sel:DWORD dst_unused:UNUSED_PAD src0_sel:WORD_1 src1_sel:DWORD
	v_add_f16_e32 v22, v0, v22
	v_fma_f16 v44, v35, 0xb93d, -v44
	v_fma_f16 v33, v1, 0xb93d, -v33
	v_fmamk_f16 v49, v35, 0xbbad, v46
	v_fmamk_f16 v52, v2, 0xb482, v47
	v_fma_f16 v45, v35, 0xbbad, -v46
	v_pk_add_f16 v46, v3, v4 neg_lo:[0,1] neg_hi:[0,1]
	v_fmac_f16_e32 v47, 0x3482, v2
	v_pk_add_f16 v3, v4, v3
	v_add_f16_e32 v40, v52, v40
	v_mul_f16_sdwa v52, v35, v23 dst_sel:DWORD dst_unused:UNUSED_PAD src0_sel:WORD_1 src1_sel:DWORD
	v_pk_mul_f16 v4, 0xbbeb, v46 op_sel_hi:[0,1]
	v_add_f16_e32 v39, v0, v39
	v_add_f16_e32 v15, v44, v15
	v_mul_f16_sdwa v44, v2, v51 dst_sel:DWORD dst_unused:UNUSED_PAD src0_sel:WORD_1 src1_sel:DWORD
	v_add_f16_e32 v22, v45, v22
	v_add_f16_e32 v28, v47, v28
	v_fmamk_f16 v45, v2, 0xbbeb, v52
	v_pk_fma_f16 v47, 0xb08e, v3, v4 op_sel:[0,0,1] op_sel_hi:[0,1,0]
	v_pk_fma_f16 v4, 0xb08e, v3, v4 op_sel:[0,0,1] op_sel_hi:[0,1,0] neg_lo:[0,0,1] neg_hi:[0,0,1]
	v_fmac_f16_e32 v34, 0xba0c, v29
	v_add_f16_e32 v33, v0, v33
	v_add_f16_e32 v39, v49, v39
	v_fmamk_f16 v49, v35, 0xb08e, v44
	v_fma_f16 v44, v35, 0xb08e, -v44
	v_mul_f16_sdwa v48, v46, v48 dst_sel:DWORD dst_unused:UNUSED_PAD src0_sel:WORD_1 src1_sel:DWORD
	v_add_f16_e32 v41, v45, v41
	v_bfi_b32 v45, 0xffff, v47, v4
	v_add_f16_sdwa v34, v0, v34 dst_sel:DWORD dst_unused:UNUSED_PAD src0_sel:WORD_1 src1_sel:DWORD
	v_add_f16_e32 v32, v49, v32
	v_fmac_f16_e32 v52, 0x3beb, v2
	v_add_f16_e32 v33, v44, v33
	v_fmamk_f16 v44, v3, 0xbbad, v48
	v_mul_f16_sdwa v49, v3, v50 dst_sel:DWORD dst_unused:UNUSED_PAD src0_sel:WORD_1 src1_sel:DWORD
	v_pk_add_f16 v42, v45, v42
	v_mov_b32_e32 v45, 0x3b47
	v_add_f16_e32 v34, v52, v34
	v_add_f16_e32 v37, v44, v37
	v_fmamk_f16 v44, v46, 0xb482, v49
	v_fmac_f16_e32 v49, 0x3482, v46
	v_mul_f16_sdwa v52, v46, v45 dst_sel:DWORD dst_unused:UNUSED_PAD src0_sel:WORD_1 src1_sel:DWORD
	v_fma_f16 v48, v3, 0xbbad, -v48
	v_mul_f16_sdwa v53, v3, v20 dst_sel:DWORD dst_unused:UNUSED_PAD src0_sel:WORD_1 src1_sel:DWORD
	v_add_f16_e32 v38, v44, v38
	v_add_f16_e32 v31, v49, v31
	v_fmamk_f16 v44, v3, 0x36a6, v52
	v_mov_b32_e32 v49, 0xb853
	v_fma_f16 v52, v3, 0x36a6, -v52
	v_add_f16_e32 v15, v48, v15
	v_fmamk_f16 v48, v46, 0xbb47, v53
	v_add_f16_e32 v39, v44, v39
	v_mul_f16_sdwa v44, v46, v49 dst_sel:DWORD dst_unused:UNUSED_PAD src0_sel:WORD_1 src1_sel:DWORD
	v_add_f16_e32 v22, v52, v22
	v_pk_add_f16 v52, v6, v19 neg_lo:[0,1] neg_hi:[0,1]
	v_fmac_f16_e32 v53, 0x3b47, v46
	v_pk_add_f16 v19, v19, v6
	v_fmamk_f16 v55, v3, 0x3abb, v44
	v_add_f16_e32 v40, v48, v40
	v_pk_mul_f16 v6, 0xba0c, v52 op_sel_hi:[0,1]
	v_add_f16_e32 v28, v53, v28
	v_mul_f16_sdwa v48, v3, v54 dst_sel:DWORD dst_unused:UNUSED_PAD src0_sel:WORD_1 src1_sel:DWORD
	v_add_f16_e32 v32, v55, v32
	v_mul_f16_sdwa v23, v19, v23 dst_sel:DWORD dst_unused:UNUSED_PAD src0_sel:WORD_1 src1_sel:DWORD
	v_pk_fma_f16 v53, 0xb93d, v19, v6 op_sel:[0,0,1] op_sel_hi:[0,1,0]
	v_pk_fma_f16 v55, 0xb93d, v19, v6 op_sel:[0,0,1] op_sel_hi:[0,1,0] neg_lo:[0,0,1] neg_hi:[0,0,1]
	v_fma_f16 v6, v3, 0x3abb, -v44
	v_mul_f16_sdwa v44, v52, v51 dst_sel:DWORD dst_unused:UNUSED_PAD src0_sel:WORD_1 src1_sel:DWORD
	v_fmamk_f16 v56, v46, 0x3853, v48
	v_fmac_f16_e32 v48, 0xb853, v46
	v_bfi_b32 v51, 0xffff, v53, v55
	v_add_f16_e32 v6, v6, v33
	v_fmamk_f16 v33, v19, 0xb08e, v44
	v_fma_f16 v44, v19, 0xb08e, -v44
	v_add_f16_e32 v34, v48, v34
	v_fmamk_f16 v48, v52, 0xbbeb, v23
	v_fmac_f16_e32 v23, 0x3beb, v52
	v_add_f16_e32 v33, v33, v37
	v_mul_f16_sdwa v37, v52, v49 dst_sel:DWORD dst_unused:UNUSED_PAD src0_sel:WORD_1 src1_sel:DWORD
	v_add_f16_e32 v15, v44, v15
	v_mov_b32_e32 v49, 0xb482
	v_add_f16_e32 v23, v23, v31
	v_add_f16_e32 v38, v48, v38
	v_fmamk_f16 v44, v19, 0x3abb, v37
	v_fma_f16 v37, v19, 0x3abb, -v37
	v_mul_f16_sdwa v48, v19, v54 dst_sel:DWORD dst_unused:UNUSED_PAD src0_sel:WORD_1 src1_sel:DWORD
	v_pk_add_f16 v42, v51, v42
	v_add_f16_e32 v41, v56, v41
	v_add_f16_e32 v31, v44, v39
	v_mul_f16_sdwa v39, v52, v49 dst_sel:DWORD dst_unused:UNUSED_PAD src0_sel:WORD_1 src1_sel:DWORD
	v_add_f16_e32 v22, v37, v22
	v_pk_add_f16 v37, v7, v18 neg_lo:[0,1] neg_hi:[0,1]
	v_fmamk_f16 v51, v52, 0x3853, v48
	v_fmac_f16_e32 v48, 0xb853, v52
	v_fmamk_f16 v44, v19, 0xbbad, v39
	v_mul_f16_sdwa v49, v19, v50 dst_sel:DWORD dst_unused:UNUSED_PAD src0_sel:WORD_1 src1_sel:DWORD
	v_pk_add_f16 v18, v18, v7
	v_pk_mul_f16 v7, 0xb482, v37 op_sel_hi:[0,1]
	v_add_f16_e32 v40, v51, v40
	v_add_f16_e32 v32, v44, v32
	v_mov_b32_e32 v44, 0x3853
	v_add_f16_e32 v28, v48, v28
	v_fmamk_f16 v48, v52, 0x3482, v49
	v_pk_fma_f16 v50, 0xbbad, v18, v7 op_sel:[0,0,1] op_sel_hi:[0,1,0]
	v_pk_fma_f16 v51, 0xbbad, v18, v7 op_sel:[0,0,1] op_sel_hi:[0,1,0] neg_lo:[0,0,1] neg_hi:[0,0,1]
	v_fma_f16 v7, v19, 0xbbad, -v39
	v_mul_f16_sdwa v39, v37, v44 dst_sel:DWORD dst_unused:UNUSED_PAD src0_sel:WORD_1 src1_sel:DWORD
	v_add_f16_e32 v41, v48, v41
	v_mul_f16_sdwa v24, v37, v24 dst_sel:DWORD dst_unused:UNUSED_PAD src0_sel:WORD_1 src1_sel:DWORD
	v_bfi_b32 v44, 0xffff, v50, v51
	v_add_f16_e32 v48, v7, v6
	v_fmamk_f16 v6, v18, 0x3abb, v39
	v_mul_f16_sdwa v7, v18, v54 dst_sel:DWORD dst_unused:UNUSED_PAD src0_sel:WORD_1 src1_sel:DWORD
	v_fma_f16 v39, v18, 0x3abb, -v39
	v_pk_add_f16 v42, v44, v42
	v_fmamk_f16 v44, v18, 0xb93d, v24
	v_add_f16_e32 v33, v6, v33
	v_fmamk_f16 v6, v37, 0xb853, v7
	v_fmac_f16_e32 v7, 0x3853, v37
	v_mul_f16_sdwa v25, v18, v25 dst_sel:DWORD dst_unused:UNUSED_PAD src0_sel:WORD_1 src1_sel:DWORD
	v_fma_f16 v24, v18, 0xb93d, -v24
	v_fmac_f16_e32 v49, 0xb482, v52
	v_add_f16_e32 v38, v6, v38
	v_add_f16_e32 v6, v39, v15
	;; [unrolled: 1-line block ×4, first 2 shown]
	v_fmamk_f16 v23, v37, 0x3a0c, v25
	v_fmac_f16_e32 v25, 0xba0c, v37
	v_mul_f16_sdwa v31, v37, v45 dst_sel:DWORD dst_unused:UNUSED_PAD src0_sel:WORD_1 src1_sel:DWORD
	v_mul_f16_sdwa v20, v18, v20 dst_sel:DWORD dst_unused:UNUSED_PAD src0_sel:WORD_1 src1_sel:DWORD
	v_add_f16_e32 v22, v24, v22
	v_pk_mul_f16 v1, 0xbbad, v1 op_sel_hi:[0,1]
	v_add_f16_e32 v24, v25, v28
	v_fmamk_f16 v25, v18, 0x36a6, v31
	s_barrier
	buffer_gl0_inv
	v_add_f16_e32 v34, v49, v34
	v_fmamk_f16 v28, v37, 0xbb47, v20
	v_fmac_f16_e32 v20, 0x3b47, v37
	v_add_f16_e32 v25, v25, v32
	v_pk_fma_f16 v32, 0xb482, v29, v1 op_sel:[0,0,1] op_sel_hi:[0,1,0]
	ds_write2_b32 v27, v5, v42 offset1:1
	v_pk_mul_f16 v5, 0x3abb, v35 op_sel_hi:[0,1]
	v_add_f16_e32 v23, v23, v40
	v_add_f16_e32 v20, v20, v34
	v_alignbit_b32 v34, s0, v32, 16
	v_pk_fma_f16 v1, 0xb482, v29, v1 op_sel:[0,0,1] op_sel_hi:[0,1,0] neg_lo:[0,1,0] neg_hi:[0,1,0]
	v_pk_fma_f16 v29, 0x3853, v2, v5 op_sel:[0,0,1] op_sel_hi:[0,1,0]
	v_pk_mul_f16 v3, 0xb93d, v3 op_sel_hi:[0,1]
	v_pack_b32_f16 v15, v15, v23
	v_pack_b32_f16 v23, v33, v38
	v_pk_add_f16 v33, v0, v34
	v_alignbit_b32 v34, s0, v0, 16
	v_pk_add_f16 v1, v0, v1 op_sel:[1,0] op_sel_hi:[0,1]
	v_alignbit_b32 v35, s0, v29, 16
	v_pk_fma_f16 v2, 0x3853, v2, v5 op_sel:[0,0,1] op_sel_hi:[0,1,0] neg_lo:[0,1,0] neg_hi:[0,1,0]
	v_pk_fma_f16 v5, 0xba0c, v46, v3 op_sel:[0,0,1] op_sel_hi:[0,1,0]
	v_pk_mul_f16 v19, 0x36a6, v19 op_sel_hi:[0,1]
	v_pk_add_f16 v32, v34, v32
	v_pk_add_f16 v33, v35, v33
	;; [unrolled: 1-line block ×3, first 2 shown]
	v_alignbit_b32 v2, s0, v5, 16
	v_pk_fma_f16 v3, 0xba0c, v46, v3 op_sel:[0,0,1] op_sel_hi:[0,1,0] neg_lo:[0,1,0] neg_hi:[0,1,0]
	v_pk_fma_f16 v34, 0x3b47, v52, v19 op_sel:[0,0,1] op_sel_hi:[0,1,0]
	v_bfi_b32 v30, 0xffff, v30, v36
	v_fma_f16 v31, v18, 0x36a6, -v31
	v_pk_add_f16 v29, v29, v32
	v_pk_add_f16 v2, v2, v33
	;; [unrolled: 1-line block ×3, first 2 shown]
	v_alignbit_b32 v3, s0, v34, 16
	v_pk_mul_f16 v18, 0xb08e, v18 op_sel_hi:[0,1]
	v_pk_add_f16 v0, v0, v30
	v_bfi_b32 v11, 0xffff, v43, v11
	v_pk_add_f16 v5, v5, v29
	v_pk_fma_f16 v19, 0x3b47, v52, v19 op_sel:[0,0,1] op_sel_hi:[0,1,0] neg_lo:[0,1,0] neg_hi:[0,1,0]
	v_pk_add_f16 v2, v3, v2
	v_pk_fma_f16 v3, 0xbbeb, v37, v18 op_sel:[0,0,1] op_sel_hi:[0,1,0]
	v_pk_add_f16 v0, v11, v0
	v_bfi_b32 v4, 0xffff, v4, v47
	v_pk_add_f16 v1, v19, v1
	v_pk_fma_f16 v11, 0xbbeb, v37, v18 op_sel:[0,0,1] op_sel_hi:[0,1,0] neg_lo:[0,1,0] neg_hi:[0,1,0]
	v_pk_add_f16 v5, v34, v5
	v_alignbit_b32 v18, s0, v3, 16
	v_pk_add_f16 v0, v4, v0
	v_bfi_b32 v4, 0xffff, v55, v53
	v_add_f16_e32 v28, v28, v41
	v_pk_add_f16 v1, v11, v1
	v_pk_add_f16 v3, v3, v5
	v_pk_add_f16 v2, v18, v2
	v_add_f16_e32 v31, v31, v48
	v_pk_add_f16 v0, v4, v0
	v_bfi_b32 v4, 0xffff, v51, v50
	v_pack_b32_f16 v5, v25, v28
	v_alignbit_b32 v3, v3, v1, 16
	v_pack_b32_f16 v1, v2, v1
	v_pack_b32_f16 v2, v22, v24
	;; [unrolled: 1-line block ×3, first 2 shown]
	v_pk_add_f16 v11, v4, v0
	v_pack_b32_f16 v0, v6, v7
	ds_write2_b32 v27, v23, v15 offset0:2 offset1:3
	ds_write_b32 v27, v5 offset:16
	ds_write2_b32 v27, v1, v3 offset0:5 offset1:6
	ds_write2_b32 v27, v18, v2 offset0:7 offset1:8
	;; [unrolled: 1-line block ×3, first 2 shown]
	v_add_nc_u32_e32 v0, 0x600, v26
	v_add_nc_u32_e32 v2, 0xb80, v26
	v_lshl_add_u32 v29, v14, 2, 0
	v_lshl_add_u32 v28, v17, 2, 0
	s_waitcnt lgkmcnt(0)
	s_barrier
	buffer_gl0_inv
	ds_read2_b32 v[0:1], v0 offset0:100 offset1:232
	ds_read2_b32 v[4:5], v2 offset0:12 offset1:232
	;; [unrolled: 1-line block ×3, first 2 shown]
	ds_read_b32 v21, v26
	ds_read_b32 v20, v29
	;; [unrolled: 1-line block ×3, first 2 shown]
	v_lshrrev_b32_e32 v23, 16, v11
	v_cmp_gt_u32_e64 s0, 0x58, v10
	v_lshl_add_u32 v27, v16, 2, 0
                                        ; implicit-def: $vgpr22
                                        ; implicit-def: $vgpr15
	s_and_saveexec_b32 s1, s0
	s_cbranch_execz .LBB0_15
; %bb.14:
	ds_read_b32 v6, v27
	ds_read_b32 v15, v26 offset:5456
	ds_read_b32 v11, v26 offset:3520
	s_waitcnt lgkmcnt(2)
	v_lshrrev_b32_e32 v7, 16, v6
	s_waitcnt lgkmcnt(1)
	v_lshrrev_b32_e32 v22, 16, v15
	;; [unrolled: 2-line block ×3, first 2 shown]
.LBB0_15:
	s_or_b32 exec_lo, exec_lo, s1
	v_and_b32_e32 v18, 0xff, v10
	v_mov_b32_e32 v30, 0xba2f
	v_mov_b32_e32 v31, 3
	s_waitcnt lgkmcnt(5)
	v_lshrrev_b32_e32 v48, 16, v0
	s_waitcnt lgkmcnt(4)
	v_lshrrev_b32_e32 v49, 16, v5
	v_mul_lo_u16 v24, 0x75, v18
	v_mov_b32_e32 v53, 0x84
	v_lshrrev_b32_e32 v50, 16, v1
	s_waitcnt lgkmcnt(3)
	v_lshrrev_b32_e32 v51, 16, v2
	v_lshrrev_b32_e32 v52, 16, v4
	v_lshrrev_b16 v24, 8, v24
	v_lshrrev_b32_e32 v54, 16, v3
	s_waitcnt lgkmcnt(1)
	v_lshrrev_b32_e32 v46, 16, v20
	v_lshrrev_b32_e32 v45, 16, v21
	s_waitcnt lgkmcnt(0)
	v_lshrrev_b32_e32 v47, 16, v19
	v_sub_nc_u16 v25, v10, v24
	v_lshrrev_b16 v25, 1, v25
	v_and_b32_e32 v25, 0x7f, v25
	v_add_nc_u16 v24, v25, v24
	v_mul_u32_u24_sdwa v25, v14, v30 dst_sel:DWORD dst_unused:UNUSED_PAD src0_sel:WORD_0 src1_sel:DWORD
	v_lshrrev_b16 v32, 3, v24
	v_mul_u32_u24_sdwa v24, v17, v30 dst_sel:DWORD dst_unused:UNUSED_PAD src0_sel:WORD_0 src1_sel:DWORD
	v_mul_u32_u24_sdwa v30, v16, v30 dst_sel:DWORD dst_unused:UNUSED_PAD src0_sel:WORD_0 src1_sel:DWORD
	v_lshrrev_b32_e32 v41, 19, v25
	v_mul_lo_u16 v25, v32, 11
	v_lshrrev_b32_e32 v42, 19, v24
	v_lshrrev_b32_e32 v24, 19, v30
	v_mul_lo_u16 v33, v41, 11
	v_mul_u32_u24_e32 v41, 0x84, v41
	v_sub_nc_u16 v43, v10, v25
	v_mul_lo_u16 v25, v42, 11
	v_mul_lo_u16 v35, v24, 11
	v_sub_nc_u16 v30, v14, v33
	v_mul_u32_u24_e32 v42, 0x84, v42
	v_lshlrev_b32_sdwa v33, v31, v43 dst_sel:DWORD dst_unused:UNUSED_PAD src0_sel:DWORD src1_sel:BYTE_0
	v_sub_nc_u16 v44, v17, v25
	v_sub_nc_u16 v25, v16, v35
	v_lshlrev_b32_sdwa v36, v31, v30 dst_sel:DWORD dst_unused:UNUSED_PAD src0_sel:DWORD src1_sel:WORD_0
	global_load_dwordx2 v[33:34], v33, s[12:13]
	v_lshlrev_b32_sdwa v37, v31, v44 dst_sel:DWORD dst_unused:UNUSED_PAD src0_sel:DWORD src1_sel:WORD_0
	v_lshlrev_b32_sdwa v31, v31, v25 dst_sel:DWORD dst_unused:UNUSED_PAD src0_sel:DWORD src1_sel:WORD_0
	s_clause 0x2
	global_load_dwordx2 v[35:36], v36, s[12:13]
	global_load_dwordx2 v[37:38], v37, s[12:13]
	global_load_dwordx2 v[39:40], v31, s[12:13]
	v_mov_b32_e32 v31, 2
	s_waitcnt vmcnt(0)
	s_barrier
	buffer_gl0_inv
	v_lshlrev_b32_sdwa v30, v31, v30 dst_sel:DWORD dst_unused:UNUSED_PAD src0_sel:DWORD src1_sel:WORD_0
	v_lshlrev_b32_sdwa v44, v31, v44 dst_sel:DWORD dst_unused:UNUSED_PAD src0_sel:DWORD src1_sel:WORD_0
	v_add3_u32 v41, 0, v41, v30
	v_mul_u32_u24_sdwa v30, v32, v53 dst_sel:DWORD dst_unused:UNUSED_PAD src0_sel:WORD_0 src1_sel:DWORD
	v_lshlrev_b32_sdwa v32, v31, v43 dst_sel:DWORD dst_unused:UNUSED_PAD src0_sel:DWORD src1_sel:BYTE_0
	v_add3_u32 v42, 0, v42, v44
	v_add3_u32 v43, 0, v30, v32
	v_mul_f16_sdwa v44, v33, v48 dst_sel:DWORD dst_unused:UNUSED_PAD src0_sel:WORD_1 src1_sel:DWORD
	v_mul_f16_sdwa v53, v33, v0 dst_sel:DWORD dst_unused:UNUSED_PAD src0_sel:WORD_1 src1_sel:DWORD
	;; [unrolled: 1-line block ×12, first 2 shown]
	v_mul_f16_sdwa v32, v23, v39 dst_sel:DWORD dst_unused:UNUSED_PAD src0_sel:DWORD src1_sel:WORD_1
	v_mul_f16_sdwa v65, v11, v39 dst_sel:DWORD dst_unused:UNUSED_PAD src0_sel:DWORD src1_sel:WORD_1
	;; [unrolled: 1-line block ×4, first 2 shown]
	v_fma_f16 v48, v33, v48, -v53
	v_fma_f16 v49, v34, v49, -v56
	v_fmac_f16_e32 v44, v33, v0
	v_fmac_f16_e32 v55, v34, v5
	;; [unrolled: 1-line block ×3, first 2 shown]
	v_fma_f16 v5, v35, v50, -v58
	v_fmac_f16_e32 v59, v36, v2
	v_fma_f16 v33, v36, v51, -v60
	v_fmac_f16_e32 v61, v37, v4
	;; [unrolled: 2-line block ×5, first 2 shown]
	v_fma_f16 v0, v22, v40, -v66
	v_add_f16_e32 v15, v44, v55
	v_add_f16_e32 v34, v48, v49
	;; [unrolled: 1-line block ×3, first 2 shown]
	v_sub_f16_e32 v38, v5, v33
	v_add_f16_e32 v39, v46, v5
	v_add_f16_e32 v5, v5, v33
	v_sub_f16_e32 v22, v48, v49
	v_add_f16_e32 v23, v45, v48
	v_add_f16_e32 v48, v61, v63
	;; [unrolled: 1-line block ×4, first 2 shown]
	v_sub_f16_e32 v35, v44, v55
	v_add_f16_e32 v51, v47, v2
	v_add_f16_e32 v54, v32, v30
	;; [unrolled: 1-line block ×3, first 2 shown]
	v_fmac_f16_e32 v21, -0.5, v15
	v_fmac_f16_e32 v45, -0.5, v34
	v_add_f16_e32 v36, v20, v57
	v_sub_f16_e32 v40, v57, v59
	v_fmac_f16_e32 v20, -0.5, v37
	v_fmac_f16_e32 v46, -0.5, v5
	v_add_f16_e32 v44, v19, v61
	v_sub_f16_e32 v50, v2, v3
	v_sub_f16_e32 v53, v61, v63
	v_fmac_f16_e32 v19, -0.5, v48
	v_fmac_f16_e32 v47, -0.5, v52
	v_sub_f16_e32 v2, v1, v0
	v_sub_f16_e32 v4, v32, v30
	v_add_f16_e32 v55, v11, v55
	v_add_f16_e32 v23, v23, v49
	;; [unrolled: 1-line block ×4, first 2 shown]
	v_fma_f16 v3, -0.5, v54, v6
	v_fma_f16 v5, -0.5, v56, v7
	v_fmamk_f16 v39, v22, 0xbaee, v21
	v_fmac_f16_e32 v21, 0x3aee, v22
	v_fmamk_f16 v22, v35, 0x3aee, v45
	v_fmac_f16_e32 v45, 0xbaee, v35
	v_add_f16_e32 v34, v36, v59
	v_fmamk_f16 v35, v38, 0xbaee, v20
	v_fmac_f16_e32 v20, 0x3aee, v38
	v_fmamk_f16 v38, v40, 0x3aee, v46
	v_fmac_f16_e32 v46, 0xbaee, v40
	v_add_f16_e32 v36, v44, v63
	v_fmamk_f16 v40, v50, 0xbaee, v19
	v_fmamk_f16 v44, v53, 0x3aee, v47
	v_fmac_f16_e32 v19, 0x3aee, v50
	v_fmac_f16_e32 v47, 0xbaee, v53
	v_fmamk_f16 v11, v2, 0x3aee, v3
	v_fmamk_f16 v15, v4, 0xbaee, v5
	v_pack_b32_f16 v23, v55, v23
	v_pack_b32_f16 v22, v39, v22
	;; [unrolled: 1-line block ×9, first 2 shown]
	ds_write2_b32 v43, v23, v22 offset1:11
	ds_write_b32 v43, v21 offset:88
	ds_write2_b32 v41, v33, v35 offset1:11
	ds_write_b32 v41, v20 offset:88
	;; [unrolled: 2-line block ×3, first 2 shown]
	s_and_saveexec_b32 s1, s0
	s_cbranch_execz .LBB0_17
; %bb.16:
	v_mul_f16_e32 v4, 0x3aee, v4
	v_add_f16_e32 v1, v7, v1
	v_mul_f16_e32 v2, 0x3aee, v2
	v_mul_lo_u16 v7, v24, 33
	v_add_f16_e32 v6, v6, v32
	v_add_f16_e32 v4, v4, v5
	;; [unrolled: 1-line block ×3, first 2 shown]
	v_lshlrev_b32_sdwa v1, v31, v25 dst_sel:DWORD dst_unused:UNUSED_PAD src0_sel:DWORD src1_sel:WORD_0
	v_lshlrev_b32_sdwa v5, v31, v7 dst_sel:DWORD dst_unused:UNUSED_PAD src0_sel:DWORD src1_sel:WORD_0
	v_add_f16_e32 v6, v6, v30
	v_sub_f16_e32 v2, v3, v2
	v_perm_b32 v3, v15, v11, 0x5040100
	v_add3_u32 v1, 0, v1, v5
	v_pack_b32_f16 v0, v6, v0
	v_pack_b32_f16 v2, v2, v4
	ds_write2_b32 v1, v0, v2 offset1:11
	ds_write_b32 v1, v3 offset:88
.LBB0_17:
	s_or_b32 exec_lo, exec_lo, s1
	v_mul_lo_u16 v0, 0xf9, v18
	v_mov_b32_e32 v1, 10
	s_waitcnt lgkmcnt(0)
	s_barrier
	buffer_gl0_inv
	v_lshrrev_b16 v33, 13, v0
	v_add_nc_u32_e32 v20, 0xc00, v26
	v_add_nc_u32_e32 v30, 0x1000, v26
	;; [unrolled: 1-line block ×3, first 2 shown]
	v_mov_b32_e32 v39, 0x5ac
	v_mul_lo_u16 v0, v33, 33
	v_add_nc_u32_e32 v40, 0x400, v26
	v_add_nc_u32_e32 v41, 0xa00, v26
	v_cmp_gt_u32_e64 s0, 0x63, v10
	v_mul_u32_u24_sdwa v33, v33, v39 dst_sel:DWORD dst_unused:UNUSED_PAD src0_sel:WORD_0 src1_sel:DWORD
	v_sub_nc_u16 v32, v10, v0
	v_mul_u32_u24_sdwa v0, v32, v1 dst_sel:DWORD dst_unused:UNUSED_PAD src0_sel:BYTE_0 src1_sel:DWORD
	v_lshlrev_b32_sdwa v31, v31, v32 dst_sel:DWORD dst_unused:UNUSED_PAD src0_sel:DWORD src1_sel:BYTE_0
	v_lshlrev_b32_e32 v18, 2, v0
	v_add3_u32 v31, 0, v33, v31
	s_clause 0x2
	global_load_dwordx4 v[0:3], v18, s[12:13] offset:88
	global_load_dwordx4 v[4:7], v18, s[12:13] offset:104
	global_load_dwordx2 v[18:19], v18, s[12:13] offset:120
	ds_read_b32 v34, v26 offset:5280
	ds_read_b32 v35, v28
	ds_read_b32 v37, v29
	;; [unrolled: 1-line block ×3, first 2 shown]
	ds_read2_b32 v[22:23], v20 offset0:24 offset1:156
	ds_read2_b32 v[20:21], v30 offset0:32 offset1:164
	;; [unrolled: 1-line block ×3, first 2 shown]
	ds_read_b32 v38, v26
	v_add_nc_u32_e32 v49, 0x400, v31
	s_waitcnt vmcnt(0) lgkmcnt(0)
	s_barrier
	buffer_gl0_inv
	v_lshrrev_b32_e32 v39, 16, v34
	v_lshrrev_b32_e32 v43, 16, v35
	;; [unrolled: 1-line block ×10, first 2 shown]
	v_mul_f16_sdwa v50, v0, v42 dst_sel:DWORD dst_unused:UNUSED_PAD src0_sel:WORD_1 src1_sel:DWORD
	v_mul_f16_sdwa v51, v0, v37 dst_sel:DWORD dst_unused:UNUSED_PAD src0_sel:WORD_1 src1_sel:DWORD
	;; [unrolled: 1-line block ×6, first 2 shown]
	v_mul_f16_sdwa v66, v47, v18 dst_sel:DWORD dst_unused:UNUSED_PAD src0_sel:DWORD src1_sel:WORD_1
	v_mul_f16_sdwa v67, v21, v18 dst_sel:DWORD dst_unused:UNUSED_PAD src0_sel:DWORD src1_sel:WORD_1
	;; [unrolled: 1-line block ×4, first 2 shown]
	v_fmac_f16_e32 v50, v0, v37
	v_fma_f16 v0, v0, v42, -v51
	v_mul_f16_sdwa v54, v2, v44 dst_sel:DWORD dst_unused:UNUSED_PAD src0_sel:WORD_1 src1_sel:DWORD
	v_mul_f16_sdwa v55, v2, v36 dst_sel:DWORD dst_unused:UNUSED_PAD src0_sel:WORD_1 src1_sel:DWORD
	;; [unrolled: 1-line block ×4, first 2 shown]
	v_mul_f16_sdwa v60, v32, v5 dst_sel:DWORD dst_unused:UNUSED_PAD src0_sel:DWORD src1_sel:WORD_1
	v_mul_f16_sdwa v61, v22, v5 dst_sel:DWORD dst_unused:UNUSED_PAD src0_sel:DWORD src1_sel:WORD_1
	;; [unrolled: 1-line block ×4, first 2 shown]
	v_fmac_f16_e32 v52, v1, v35
	v_fma_f16 v1, v1, v43, -v53
	v_fmac_f16_e32 v56, v3, v24
	v_fmac_f16_e32 v58, v4, v25
	;; [unrolled: 1-line block ×4, first 2 shown]
	v_fma_f16 v24, v39, v19, -v69
	v_fma_f16 v25, v47, v18, -v67
	v_add_f16_e32 v18, v50, v38
	v_add_f16_sdwa v19, v0, v38 dst_sel:DWORD dst_unused:UNUSED_PAD src0_sel:DWORD src1_sel:WORD_1
	v_mul_f16_sdwa v62, v45, v6 dst_sel:DWORD dst_unused:UNUSED_PAD src0_sel:DWORD src1_sel:WORD_1
	v_mul_f16_sdwa v63, v23, v6 dst_sel:DWORD dst_unused:UNUSED_PAD src0_sel:DWORD src1_sel:WORD_1
	v_fmac_f16_e32 v54, v2, v36
	v_fma_f16 v2, v2, v44, -v55
	v_fmac_f16_e32 v60, v22, v5
	v_fma_f16 v5, v32, v5, -v61
	;; [unrolled: 2-line block ×3, first 2 shown]
	v_add_f16_e32 v32, v1, v25
	v_sub_f16_e32 v34, v1, v25
	v_add_f16_e32 v18, v18, v52
	v_add_f16_e32 v1, v19, v1
	v_fma_f16 v3, v3, v48, -v57
	v_fma_f16 v4, v4, v33, -v59
	v_fmac_f16_e32 v62, v23, v6
	v_fma_f16 v6, v45, v6, -v63
	v_add_f16_e32 v21, v0, v24
	v_sub_f16_e32 v0, v0, v24
	v_sub_f16_e32 v36, v2, v7
	v_add_f16_e32 v37, v2, v7
	v_add_f16_e32 v1, v1, v2
	;; [unrolled: 1-line block ×4, first 2 shown]
	v_sub_f16_e32 v22, v50, v68
	v_add_f16_e32 v23, v52, v66
	v_sub_f16_e32 v33, v52, v66
	v_sub_f16_e32 v42, v3, v6
	v_add_f16_e32 v44, v3, v6
	v_sub_f16_e32 v46, v4, v5
	v_add_f16_e32 v48, v4, v5
	v_mul_f16_e32 v19, 0xb853, v0
	v_mul_f16_e32 v51, 0x3abb, v21
	;; [unrolled: 1-line block ×10, first 2 shown]
	v_add_f16_e32 v2, v2, v56
	v_add_f16_e32 v1, v1, v3
	;; [unrolled: 1-line block ×3, first 2 shown]
	v_sub_f16_e32 v39, v54, v64
	v_add_f16_e32 v43, v56, v62
	v_sub_f16_e32 v45, v56, v62
	v_add_f16_e32 v47, v58, v60
	v_sub_f16_e32 v50, v58, v60
	v_mul_f16_e32 v63, 0xbb47, v34
	v_mul_f16_e32 v65, 0x36a6, v32
	v_mul_f16_e32 v67, 0xba0c, v34
	v_mul_f16_e32 v69, 0xb93d, v32
	v_mul_f16_e32 v70, 0x3482, v34
	v_mul_f16_e32 v71, 0xbbad, v32
	v_mul_f16_e32 v72, 0x3beb, v34
	v_mul_f16_e32 v73, 0xb08e, v32
	v_mul_f16_e32 v34, 0x3853, v34
	v_mul_f16_e32 v32, 0x3abb, v32
	v_mul_f16_e32 v74, 0xbbeb, v36
	v_mul_f16_e32 v75, 0x3482, v36
	v_mul_f16_e32 v76, 0x3b47, v36
	v_mul_f16_e32 v77, 0xb853, v36
	v_mul_f16_e32 v36, 0xba0c, v36
	v_mul_f16_e32 v78, 0xb08e, v37
	v_mul_f16_e32 v79, 0xbbad, v37
	v_mul_f16_e32 v80, 0x36a6, v37
	v_mul_f16_e32 v81, 0x3abb, v37
	v_mul_f16_e32 v37, 0xb93d, v37
	v_mul_f16_e32 v82, 0xba0c, v42
	v_mul_f16_e32 v83, 0x3beb, v42
	v_mul_f16_e32 v84, 0xb853, v42
	v_mul_f16_e32 v85, 0xb482, v42
	v_mul_f16_e32 v42, 0x3b47, v42
	v_mul_f16_e32 v86, 0xb93d, v44
	v_mul_f16_e32 v87, 0xb08e, v44
	v_mul_f16_e32 v88, 0x3abb, v44
	v_mul_f16_e32 v89, 0xbbad, v44
	v_mul_f16_e32 v44, 0x36a6, v44
	v_mul_f16_e32 v90, 0xb482, v46
	v_mul_f16_e32 v91, 0x3853, v46
	v_mul_f16_e32 v92, 0xba0c, v46
	v_mul_f16_e32 v93, 0x3b47, v46
	v_mul_f16_e32 v46, 0xbbeb, v46
	v_mul_f16_e32 v94, 0xbbad, v48
	v_mul_f16_e32 v95, 0x3abb, v48
	v_mul_f16_e32 v96, 0xb93d, v48
	v_mul_f16_e32 v97, 0x36a6, v48
	v_mul_f16_e32 v48, 0xb08e, v48
	v_fmamk_f16 v98, v20, 0x3abb, v19
	v_fmamk_f16 v99, v22, 0x3853, v51
	v_fma_f16 v19, v20, 0x3abb, -v19
	v_fmac_f16_e32 v51, 0xb853, v22
	v_fmamk_f16 v100, v20, 0x36a6, v52
	v_fmamk_f16 v101, v22, 0x3b47, v53
	v_fma_f16 v52, v20, 0x36a6, -v52
	v_fmac_f16_e32 v53, 0xbb47, v22
	;; [unrolled: 4-line block ×3, first 2 shown]
	v_fmamk_f16 v104, v20, 0xb93d, v59
	v_fmamk_f16 v105, v22, 0x3a0c, v61
	v_fma_f16 v59, v20, 0xb93d, -v59
	v_fmamk_f16 v106, v20, 0xbbad, v0
	v_fmamk_f16 v107, v22, 0x3482, v21
	v_fmac_f16_e32 v61, 0xba0c, v22
	v_fma_f16 v0, v20, 0xbbad, -v0
	v_fmac_f16_e32 v21, 0xb482, v22
	v_add_f16_e32 v2, v2, v58
	v_add_f16_e32 v1, v1, v4
	v_fmamk_f16 v20, v23, 0x36a6, v63
	v_fmamk_f16 v22, v33, 0x3b47, v65
	v_fma_f16 v63, v23, 0x36a6, -v63
	v_fmac_f16_e32 v65, 0xbb47, v33
	v_fmamk_f16 v108, v23, 0xb93d, v67
	v_fmamk_f16 v109, v33, 0x3a0c, v69
	v_fma_f16 v67, v23, 0xb93d, -v67
	v_fmac_f16_e32 v69, 0xba0c, v33
	;; [unrolled: 4-line block ×5, first 2 shown]
	v_fmamk_f16 v33, v35, 0xb08e, v74
	v_fma_f16 v34, v35, 0xb08e, -v74
	v_fmamk_f16 v74, v35, 0xbbad, v75
	v_fma_f16 v75, v35, 0xbbad, -v75
	v_fmamk_f16 v116, v35, 0x36a6, v76
	v_fma_f16 v76, v35, 0x36a6, -v76
	v_fmamk_f16 v117, v35, 0x3abb, v77
	v_fma_f16 v77, v35, 0x3abb, -v77
	v_fmamk_f16 v118, v35, 0xb93d, v36
	v_fma_f16 v35, v35, 0xb93d, -v36
	v_fmamk_f16 v18, v39, 0x3beb, v78
	v_fmac_f16_e32 v78, 0xbbeb, v39
	v_fmamk_f16 v36, v39, 0xb482, v79
	v_fmac_f16_e32 v79, 0x3482, v39
	v_fmamk_f16 v54, v39, 0xbb47, v80
	v_fmac_f16_e32 v80, 0x3b47, v39
	v_fmamk_f16 v119, v39, 0x3853, v81
	v_fmac_f16_e32 v81, 0xb853, v39
	v_fmamk_f16 v120, v39, 0x3a0c, v37
	v_fmac_f16_e32 v37, 0xba0c, v39
	v_fmamk_f16 v39, v43, 0xb93d, v82
	v_fma_f16 v82, v43, 0xb93d, -v82
	v_fmamk_f16 v121, v43, 0xb08e, v83
	v_fma_f16 v83, v43, 0xb08e, -v83
	v_fmamk_f16 v122, v43, 0x3abb, v84
	v_fma_f16 v84, v43, 0x3abb, -v84
	v_fmamk_f16 v123, v43, 0xbbad, v85
	v_fma_f16 v85, v43, 0xbbad, -v85
	v_fmamk_f16 v124, v43, 0x36a6, v42
	v_fma_f16 v42, v43, 0x36a6, -v42
	v_fmamk_f16 v43, v45, 0x3a0c, v86
	v_fmac_f16_e32 v86, 0xba0c, v45
	v_fmamk_f16 v125, v45, 0xbbeb, v87
	v_fmac_f16_e32 v87, 0x3beb, v45
	v_fmamk_f16 v126, v45, 0x3853, v88
	v_fmac_f16_e32 v88, 0xb853, v45
	v_fmamk_f16 v127, v45, 0x3482, v89
	v_fmac_f16_e32 v89, 0xb482, v45
	v_fmamk_f16 v128, v45, 0xbb47, v44
	v_fmac_f16_e32 v44, 0x3b47, v45
	;; [unrolled: 20-line block ×3, first 2 shown]
	v_add_f16_e32 v3, v98, v38
	v_add_f16_sdwa v50, v99, v38 dst_sel:DWORD dst_unused:UNUSED_PAD src0_sel:DWORD src1_sel:WORD_1
	v_add_f16_e32 v19, v19, v38
	v_add_f16_sdwa v51, v51, v38 dst_sel:DWORD dst_unused:UNUSED_PAD src0_sel:DWORD src1_sel:WORD_1
	v_add_f16_e32 v56, v100, v38
	v_add_f16_sdwa v98, v101, v38 dst_sel:DWORD dst_unused:UNUSED_PAD src0_sel:DWORD src1_sel:WORD_1
	v_add_f16_e32 v52, v52, v38
	v_add_f16_sdwa v53, v53, v38 dst_sel:DWORD dst_unused:UNUSED_PAD src0_sel:DWORD src1_sel:WORD_1
	v_add_f16_e32 v99, v102, v38
	v_add_f16_sdwa v100, v103, v38 dst_sel:DWORD dst_unused:UNUSED_PAD src0_sel:DWORD src1_sel:WORD_1
	v_add_f16_e32 v55, v55, v38
	v_add_f16_sdwa v57, v57, v38 dst_sel:DWORD dst_unused:UNUSED_PAD src0_sel:DWORD src1_sel:WORD_1
	v_add_f16_e32 v101, v104, v38
	v_add_f16_sdwa v102, v105, v38 dst_sel:DWORD dst_unused:UNUSED_PAD src0_sel:DWORD src1_sel:WORD_1
	v_add_f16_e32 v59, v59, v38
	v_add_f16_e32 v103, v106, v38
	v_add_f16_sdwa v104, v107, v38 dst_sel:DWORD dst_unused:UNUSED_PAD src0_sel:DWORD src1_sel:WORD_1
	v_add_f16_sdwa v61, v61, v38 dst_sel:DWORD dst_unused:UNUSED_PAD src0_sel:DWORD src1_sel:WORD_1
	v_add_f16_e32 v0, v0, v38
	v_add_f16_sdwa v21, v21, v38 dst_sel:DWORD dst_unused:UNUSED_PAD src0_sel:DWORD src1_sel:WORD_1
	v_add_f16_e32 v2, v2, v60
	v_add_f16_e32 v1, v1, v5
	;; [unrolled: 1-line block ×90, first 2 shown]
	v_pack_b32_f16 v3, v3, v4
	v_pack_b32_f16 v4, v5, v6
	;; [unrolled: 1-line block ×11, first 2 shown]
	ds_write2_b32 v31, v4, v5 offset0:66 offset1:99
	ds_write2_b32 v31, v6, v7 offset0:132 offset1:165
	;; [unrolled: 1-line block ×4, first 2 shown]
	ds_write_b32 v31, v33 offset:1320
	ds_write2_b32 v31, v1, v3 offset1:33
	s_waitcnt lgkmcnt(0)
	s_barrier
	buffer_gl0_inv
	ds_read2_b32 v[2:3], v40 offset0:107 offset1:239
	ds_read2_b32 v[0:1], v41 offset0:86 offset1:218
	;; [unrolled: 1-line block ×3, first 2 shown]
	ds_read_b32 v25, v26
	ds_read_b32 v24, v29
	s_and_saveexec_b32 s1, s0
	s_cbranch_execz .LBB0_19
; %bb.18:
	ds_read_b32 v18, v28
	ds_read_b32 v20, v26 offset:3960
	ds_read_b32 v11, v26 offset:5412
	;; [unrolled: 1-line block ×3, first 2 shown]
	s_waitcnt lgkmcnt(3)
	v_lshrrev_b32_e32 v19, 16, v18
	s_waitcnt lgkmcnt(2)
	v_lshrrev_b32_e32 v21, 16, v20
	;; [unrolled: 2-line block ×4, first 2 shown]
.LBB0_19:
	s_or_b32 exec_lo, exec_lo, s1
	v_mul_i32_i24_e32 v6, 3, v14
	v_mov_b32_e32 v7, 0
	v_mul_u32_u24_e32 v30, 3, v10
	s_waitcnt lgkmcnt(2)
	v_lshrrev_b32_e32 v40, 16, v4
	v_lshrrev_b32_e32 v41, 16, v2
	;; [unrolled: 1-line block ×3, first 2 shown]
	v_lshlrev_b64 v[33:34], 2, v[6:7]
	v_lshlrev_b32_e32 v30, 2, v30
	v_lshrrev_b32_e32 v37, 16, v5
	v_lshrrev_b32_e32 v38, 16, v1
	;; [unrolled: 1-line block ×3, first 2 shown]
	s_waitcnt lgkmcnt(1)
	v_lshrrev_b32_e32 v6, 16, v25
	v_add_co_u32 v33, s1, s12, v33
	global_load_dwordx3 v[30:32], v30, s[12:13] offset:1408
	v_add_co_ci_u32_e64 v34, s1, s13, v34, s1
	s_waitcnt lgkmcnt(0)
	v_lshrrev_b32_e32 v36, 16, v24
	global_load_dwordx3 v[33:35], v[33:34], off offset:1408
	s_waitcnt vmcnt(0)
	s_barrier
	buffer_gl0_inv
	v_mul_f16_sdwa v43, v30, v41 dst_sel:DWORD dst_unused:UNUSED_PAD src0_sel:WORD_1 src1_sel:DWORD
	v_mul_f16_sdwa v44, v30, v2 dst_sel:DWORD dst_unused:UNUSED_PAD src0_sel:WORD_1 src1_sel:DWORD
	;; [unrolled: 1-line block ×6, first 2 shown]
	v_fmac_f16_e32 v43, v30, v2
	v_fma_f16 v2, v30, v41, -v44
	v_fmac_f16_e32 v45, v31, v0
	v_fma_f16 v0, v31, v42, -v46
	;; [unrolled: 2-line block ×3, first 2 shown]
	v_mul_f16_sdwa v30, v33, v39 dst_sel:DWORD dst_unused:UNUSED_PAD src0_sel:WORD_1 src1_sel:DWORD
	v_mul_f16_sdwa v31, v33, v3 dst_sel:DWORD dst_unused:UNUSED_PAD src0_sel:WORD_1 src1_sel:DWORD
	;; [unrolled: 1-line block ×6, first 2 shown]
	v_sub_f16_e32 v44, v25, v45
	v_sub_f16_e32 v0, v6, v0
	;; [unrolled: 1-line block ×4, first 2 shown]
	v_fmac_f16_e32 v30, v33, v3
	v_fma_f16 v3, v33, v39, -v31
	v_fmac_f16_e32 v32, v34, v1
	v_fma_f16 v1, v34, v38, -v40
	;; [unrolled: 2-line block ×3, first 2 shown]
	v_fma_f16 v2, v2, 2.0, -v4
	v_add_f16_e32 v4, v44, v4
	v_sub_f16_e32 v33, v0, v45
	v_sub_f16_e32 v32, v24, v32
	;; [unrolled: 1-line block ×5, first 2 shown]
	v_fma_f16 v25, v25, 2.0, -v44
	v_fma_f16 v6, v6, 2.0, -v0
	;; [unrolled: 1-line block ×5, first 2 shown]
	v_pack_b32_f16 v4, v4, v33
	v_fma_f16 v24, v24, 2.0, -v32
	v_fma_f16 v33, v36, 2.0, -v1
	;; [unrolled: 1-line block ×4, first 2 shown]
	v_sub_f16_e32 v31, v25, v31
	v_sub_f16_e32 v2, v6, v2
	v_add_f16_e32 v5, v32, v5
	v_sub_f16_e32 v34, v1, v34
	ds_write_b32 v26, v4 offset:4356
	v_sub_f16_e32 v4, v24, v30
	v_sub_f16_e32 v3, v33, v3
	v_fma_f16 v25, v25, 2.0, -v31
	v_fma_f16 v6, v6, 2.0, -v2
	v_pack_b32_f16 v0, v35, v0
	v_fma_f16 v30, v32, 2.0, -v5
	v_fma_f16 v1, v1, 2.0, -v34
	v_pack_b32_f16 v2, v31, v2
	;; [unrolled: 3-line block ×3, first 2 shown]
	ds_write_b32 v26, v0 offset:1452
	v_pack_b32_f16 v0, v30, v1
	v_pack_b32_f16 v1, v4, v3
	;; [unrolled: 1-line block ×4, first 2 shown]
	ds_write_b32 v26, v2 offset:2904
	ds_write_b32 v26, v6
	ds_write_b32 v29, v0 offset:1452
	ds_write_b32 v29, v1 offset:2904
	ds_write_b32 v29, v3
	ds_write_b32 v29, v5 offset:4356
	s_and_saveexec_b32 s1, s0
	s_cbranch_execz .LBB0_21
; %bb.20:
	v_add_nc_u32_e32 v0, 0xffffff9d, v10
	v_cndmask_b32_e64 v0, v0, v17, s0
	v_mul_i32_i24_e32 v6, 3, v0
	v_lshlrev_b64 v[0:1], 2, v[6:7]
	v_add_co_u32 v0, s0, s12, v0
	v_add_co_ci_u32_e64 v1, s0, s13, v1, s0
	global_load_dwordx3 v[0:2], v[0:1], off offset:1408
	s_waitcnt vmcnt(0)
	v_mul_f16_sdwa v3, v21, v1 dst_sel:DWORD dst_unused:UNUSED_PAD src0_sel:DWORD src1_sel:WORD_1
	v_mul_f16_sdwa v4, v22, v0 dst_sel:DWORD dst_unused:UNUSED_PAD src0_sel:DWORD src1_sel:WORD_1
	;; [unrolled: 1-line block ×6, first 2 shown]
	v_fmac_f16_e32 v3, v20, v1
	v_fma_f16 v4, v23, v0, -v4
	v_fmac_f16_e32 v6, v22, v0
	v_fmac_f16_e32 v7, v11, v2
	v_fma_f16 v0, v21, v1, -v24
	v_fma_f16 v1, v15, v2, -v5
	v_sub_f16_e32 v2, v18, v3
	v_sub_f16_e32 v3, v6, v7
	;; [unrolled: 1-line block ×4, first 2 shown]
	v_fma_f16 v5, v18, 2.0, -v2
	v_fma_f16 v6, v6, 2.0, -v3
	;; [unrolled: 1-line block ×4, first 2 shown]
	v_add_f16_e32 v1, v2, v1
	v_sub_f16_e32 v3, v0, v3
	v_sub_f16_e32 v6, v5, v6
	v_sub_f16_e32 v4, v7, v4
	v_fma_f16 v2, v2, 2.0, -v1
	v_fma_f16 v0, v0, 2.0, -v3
	;; [unrolled: 1-line block ×3, first 2 shown]
	v_pack_b32_f16 v1, v1, v3
	v_fma_f16 v7, v7, 2.0, -v4
	v_pack_b32_f16 v0, v2, v0
	v_pack_b32_f16 v2, v6, v4
	;; [unrolled: 1-line block ×3, first 2 shown]
	ds_write_b32 v26, v0 offset:2508
	ds_write_b32 v26, v2 offset:3960
	;; [unrolled: 1-line block ×4, first 2 shown]
.LBB0_21:
	s_or_b32 exec_lo, exec_lo, s1
	s_waitcnt lgkmcnt(0)
	s_barrier
	buffer_gl0_inv
	ds_read_b32 v4, v26
	v_lshlrev_b32_e32 v0, 2, v10
	s_add_u32 s1, s12, 0x1684
	s_addc_u32 s4, s13, 0
	s_mov_b32 s5, exec_lo
                                        ; implicit-def: $vgpr3
                                        ; implicit-def: $vgpr2
                                        ; implicit-def: $vgpr1
	v_sub_nc_u32_e32 v0, 0, v0
	v_cmpx_ne_u32_e32 0, v10
	s_xor_b32 s5, exec_lo, s5
	s_cbranch_execz .LBB0_23
; %bb.22:
	v_mov_b32_e32 v11, 0
	v_lshlrev_b64 v[1:2], 2, v[10:11]
	v_add_co_u32 v1, s0, s1, v1
	v_add_co_ci_u32_e64 v2, s0, s4, v2, s0
	global_load_dword v3, v[1:2], off
	ds_read_b32 v1, v0 offset:5808
	s_waitcnt lgkmcnt(0)
	v_sub_f16_e32 v2, v4, v1
	v_add_f16_sdwa v5, v1, v4 dst_sel:DWORD dst_unused:UNUSED_PAD src0_sel:WORD_1 src1_sel:WORD_1
	v_sub_f16_sdwa v6, v4, v1 dst_sel:DWORD dst_unused:UNUSED_PAD src0_sel:WORD_1 src1_sel:WORD_1
	v_add_f16_e32 v1, v1, v4
	v_mul_f16_e32 v7, 0.5, v2
	v_mul_f16_e32 v4, 0.5, v5
	;; [unrolled: 1-line block ×3, first 2 shown]
	s_waitcnt vmcnt(0)
	v_lshrrev_b32_e32 v2, 16, v3
	v_mul_f16_e32 v6, v2, v7
	v_fma_f16 v11, v4, v2, v5
	v_fma_f16 v5, v4, v2, -v5
	v_fma_f16 v15, 0.5, v1, v6
	v_fma_f16 v6, v1, 0.5, -v6
	v_fma_f16 v1, -v3, v7, v11
	v_fmac_f16_e32 v15, v3, v4
	v_fma_f16 v2, -v3, v4, v6
	v_fma_f16 v3, -v3, v7, v5
                                        ; implicit-def: $vgpr4
	ds_write_b16 v26, v15
.LBB0_23:
	s_andn2_saveexec_b32 s0, s5
	s_cbranch_execz .LBB0_25
; %bb.24:
	v_mov_b32_e32 v1, 0
	s_waitcnt lgkmcnt(0)
	v_add_f16_sdwa v5, v4, v4 dst_sel:DWORD dst_unused:UNUSED_PAD src0_sel:WORD_1 src1_sel:DWORD
	v_sub_f16_sdwa v2, v4, v4 dst_sel:DWORD dst_unused:UNUSED_PAD src0_sel:DWORD src1_sel:WORD_1
	ds_read_u16 v3, v1 offset:2906
	s_waitcnt lgkmcnt(0)
	v_xor_b32_e32 v4, 0x8000, v3
	v_mov_b32_e32 v3, 0
	ds_write_b16 v26, v5
	ds_write_b16 v1, v4 offset:2906
.LBB0_25:
	s_or_b32 exec_lo, exec_lo, s0
	v_mov_b32_e32 v15, 0
	v_perm_b32 v2, v3, v2, 0x5040100
	s_mov_b32 s5, exec_lo
	s_waitcnt lgkmcnt(0)
	v_lshlrev_b64 v[4:5], 2, v[14:15]
	v_mov_b32_e32 v18, v15
	v_add_nc_u32_e32 v14, 0x210, v10
	v_add_co_u32 v4, s0, s1, v4
	v_add_co_ci_u32_e64 v5, s0, s4, v5, s0
	global_load_dword v6, v[4:5], off
	v_lshlrev_b64 v[4:5], 2, v[17:18]
	v_mov_b32_e32 v17, v15
	v_add_co_u32 v4, s0, s1, v4
	v_add_co_ci_u32_e64 v5, s0, s4, v5, s0
	global_load_dword v7, v[4:5], off
	v_lshlrev_b64 v[4:5], 2, v[16:17]
	v_add_co_u32 v4, s0, s1, v4
	v_add_co_ci_u32_e64 v5, s0, s4, v5, s0
	global_load_dword v11, v[4:5], off
	v_lshlrev_b64 v[4:5], 2, v[14:15]
	v_add_co_u32 v4, s0, s1, v4
	v_add_co_ci_u32_e64 v5, s0, s4, v5, s0
	global_load_dword v4, v[4:5], off
	ds_write_b16 v26, v1 offset:2
	ds_write_b32 v0, v2 offset:5808
	ds_read_b32 v1, v29
	ds_read_b32 v2, v0 offset:5280
	s_waitcnt lgkmcnt(0)
	v_pk_add_f16 v3, v1, v2 neg_lo:[0,1] neg_hi:[0,1]
	v_pk_add_f16 v1, v1, v2
	v_bfi_b32 v2, 0xffff, v3, v1
	v_bfi_b32 v1, 0xffff, v1, v3
	v_pk_mul_f16 v2, v2, 0.5 op_sel_hi:[1,0]
	v_pk_mul_f16 v1, v1, 0.5 op_sel_hi:[1,0]
	s_waitcnt vmcnt(3)
	v_pk_fma_f16 v3, v6, v2, v1 op_sel:[1,0,0]
	v_pk_mul_f16 v5, v6, v2 op_sel_hi:[0,1]
	v_pk_fma_f16 v14, v6, v2, v1 op_sel:[1,0,0] neg_lo:[1,0,0] neg_hi:[1,0,0]
	v_pk_fma_f16 v1, v6, v2, v1 op_sel:[1,0,0] neg_lo:[0,0,1] neg_hi:[0,0,1]
	v_pk_add_f16 v2, v3, v5 op_sel:[0,1] op_sel_hi:[1,0]
	v_pk_add_f16 v3, v3, v5 op_sel:[0,1] op_sel_hi:[1,0] neg_lo:[0,1] neg_hi:[0,1]
	v_pk_add_f16 v6, v14, v5 op_sel:[0,1] op_sel_hi:[1,0] neg_lo:[0,1] neg_hi:[0,1]
	v_pk_add_f16 v1, v1, v5 op_sel:[0,1] op_sel_hi:[1,0] neg_lo:[0,1] neg_hi:[0,1]
	v_bfi_b32 v2, 0xffff, v2, v3
	v_bfi_b32 v1, 0xffff, v6, v1
	ds_write_b32 v29, v2
	ds_write_b32 v0, v1 offset:5280
	ds_read_b32 v1, v28
	ds_read_b32 v2, v0 offset:4752
	s_waitcnt lgkmcnt(0)
	v_pk_add_f16 v3, v1, v2 neg_lo:[0,1] neg_hi:[0,1]
	v_pk_add_f16 v1, v1, v2
	v_bfi_b32 v2, 0xffff, v3, v1
	v_bfi_b32 v1, 0xffff, v1, v3
	v_pk_mul_f16 v2, v2, 0.5 op_sel_hi:[1,0]
	v_pk_mul_f16 v1, v1, 0.5 op_sel_hi:[1,0]
	s_waitcnt vmcnt(2)
	v_pk_mul_f16 v5, v7, v2 op_sel_hi:[0,1]
	v_pk_fma_f16 v3, v7, v2, v1 op_sel:[1,0,0]
	v_pk_fma_f16 v6, v7, v2, v1 op_sel:[1,0,0] neg_lo:[1,0,0] neg_hi:[1,0,0]
	v_pk_fma_f16 v1, v7, v2, v1 op_sel:[1,0,0] neg_lo:[0,0,1] neg_hi:[0,0,1]
	v_pk_add_f16 v2, v3, v5 op_sel:[0,1] op_sel_hi:[1,0]
	v_pk_add_f16 v3, v3, v5 op_sel:[0,1] op_sel_hi:[1,0] neg_lo:[0,1] neg_hi:[0,1]
	v_pk_add_f16 v6, v6, v5 op_sel:[0,1] op_sel_hi:[1,0] neg_lo:[0,1] neg_hi:[0,1]
	;; [unrolled: 1-line block ×3, first 2 shown]
	v_bfi_b32 v2, 0xffff, v2, v3
	v_bfi_b32 v1, 0xffff, v6, v1
	ds_write_b32 v28, v2
	ds_write_b32 v0, v1 offset:4752
	ds_read_b32 v1, v27
	ds_read_b32 v2, v0 offset:4224
	s_waitcnt lgkmcnt(0)
	v_pk_add_f16 v3, v1, v2 neg_lo:[0,1] neg_hi:[0,1]
	v_pk_add_f16 v1, v1, v2
	v_bfi_b32 v2, 0xffff, v3, v1
	v_bfi_b32 v1, 0xffff, v1, v3
	v_pk_mul_f16 v2, v2, 0.5 op_sel_hi:[1,0]
	v_pk_mul_f16 v1, v1, 0.5 op_sel_hi:[1,0]
	s_waitcnt vmcnt(1)
	v_pk_mul_f16 v5, v11, v2 op_sel_hi:[0,1]
	v_pk_fma_f16 v3, v11, v2, v1 op_sel:[1,0,0]
	v_pk_fma_f16 v6, v11, v2, v1 op_sel:[1,0,0] neg_lo:[1,0,0] neg_hi:[1,0,0]
	v_pk_fma_f16 v1, v11, v2, v1 op_sel:[1,0,0] neg_lo:[0,0,1] neg_hi:[0,0,1]
	v_pk_add_f16 v2, v3, v5 op_sel:[0,1] op_sel_hi:[1,0]
	v_pk_add_f16 v3, v3, v5 op_sel:[0,1] op_sel_hi:[1,0] neg_lo:[0,1] neg_hi:[0,1]
	v_pk_add_f16 v6, v6, v5 op_sel:[0,1] op_sel_hi:[1,0] neg_lo:[0,1] neg_hi:[0,1]
	;; [unrolled: 1-line block ×3, first 2 shown]
	v_bfi_b32 v2, 0xffff, v2, v3
	v_bfi_b32 v1, 0xffff, v6, v1
	ds_write_b32 v27, v2
	ds_write_b32 v0, v1 offset:4224
	ds_read_b32 v1, v26 offset:2112
	ds_read_b32 v2, v0 offset:3696
	s_waitcnt lgkmcnt(0)
	v_pk_add_f16 v3, v1, v2 neg_lo:[0,1] neg_hi:[0,1]
	v_pk_add_f16 v1, v1, v2
	v_bfi_b32 v2, 0xffff, v3, v1
	v_bfi_b32 v1, 0xffff, v1, v3
	v_pk_mul_f16 v2, v2, 0.5 op_sel_hi:[1,0]
	v_pk_mul_f16 v1, v1, 0.5 op_sel_hi:[1,0]
	s_waitcnt vmcnt(0)
	v_pk_mul_f16 v5, v4, v2 op_sel_hi:[0,1]
	v_pk_fma_f16 v3, v4, v2, v1 op_sel:[1,0,0]
	v_pk_fma_f16 v6, v4, v2, v1 op_sel:[1,0,0] neg_lo:[1,0,0] neg_hi:[1,0,0]
	v_pk_fma_f16 v1, v4, v2, v1 op_sel:[1,0,0] neg_lo:[0,0,1] neg_hi:[0,0,1]
	v_pk_add_f16 v2, v3, v5 op_sel:[0,1] op_sel_hi:[1,0]
	v_pk_add_f16 v3, v3, v5 op_sel:[0,1] op_sel_hi:[1,0] neg_lo:[0,1] neg_hi:[0,1]
	v_pk_add_f16 v4, v6, v5 op_sel:[0,1] op_sel_hi:[1,0] neg_lo:[0,1] neg_hi:[0,1]
	;; [unrolled: 1-line block ×3, first 2 shown]
	v_bfi_b32 v2, 0xffff, v2, v3
	v_bfi_b32 v1, 0xffff, v4, v1
	ds_write_b32 v26, v2 offset:2112
	ds_write_b32 v0, v1 offset:3696
	v_cmpx_gt_u32_e32 0x42, v10
	s_cbranch_execz .LBB0_27
; %bb.26:
	v_add_nc_u32_e32 v14, 0x294, v10
	v_lshlrev_b64 v[1:2], 2, v[14:15]
	v_add_co_u32 v1, s0, s1, v1
	v_add_co_ci_u32_e64 v2, s0, s4, v2, s0
	global_load_dword v1, v[1:2], off
	ds_read_b32 v2, v26 offset:2640
	ds_read_b32 v3, v0 offset:3168
	s_waitcnt lgkmcnt(0)
	v_pk_add_f16 v4, v2, v3 neg_lo:[0,1] neg_hi:[0,1]
	v_pk_add_f16 v2, v2, v3
	v_bfi_b32 v3, 0xffff, v4, v2
	v_bfi_b32 v2, 0xffff, v2, v4
	v_pk_mul_f16 v3, v3, 0.5 op_sel_hi:[1,0]
	v_pk_mul_f16 v2, v2, 0.5 op_sel_hi:[1,0]
	s_waitcnt vmcnt(0)
	v_pk_fma_f16 v4, v1, v3, v2 op_sel:[1,0,0]
	v_pk_mul_f16 v5, v1, v3 op_sel_hi:[0,1]
	v_pk_fma_f16 v6, v1, v3, v2 op_sel:[1,0,0] neg_lo:[1,0,0] neg_hi:[1,0,0]
	v_pk_fma_f16 v1, v1, v3, v2 op_sel:[1,0,0] neg_lo:[0,0,1] neg_hi:[0,0,1]
	v_pk_add_f16 v2, v4, v5 op_sel:[0,1] op_sel_hi:[1,0]
	v_pk_add_f16 v3, v4, v5 op_sel:[0,1] op_sel_hi:[1,0] neg_lo:[0,1] neg_hi:[0,1]
	v_pk_add_f16 v4, v6, v5 op_sel:[0,1] op_sel_hi:[1,0] neg_lo:[0,1] neg_hi:[0,1]
	;; [unrolled: 1-line block ×3, first 2 shown]
	v_bfi_b32 v2, 0xffff, v2, v3
	v_bfi_b32 v1, 0xffff, v4, v1
	ds_write_b32 v26, v2 offset:2640
	ds_write_b32 v0, v1 offset:3168
.LBB0_27:
	s_or_b32 exec_lo, exec_lo, s5
	s_waitcnt lgkmcnt(0)
	s_barrier
	buffer_gl0_inv
	s_and_saveexec_b32 s0, vcc_lo
	s_cbranch_execz .LBB0_30
; %bb.28:
	v_mul_lo_u32 v2, s3, v12
	v_mul_lo_u32 v3, s2, v13
	v_mad_u64_u32 v[0:1], null, s2, v12, 0
	v_lshl_add_u32 v20, v10, 2, 0
	v_mov_b32_e32 v11, 0
	v_add_nc_u32_e32 v4, 0x84, v10
	v_add_nc_u32_e32 v6, 0x108, v10
	;; [unrolled: 1-line block ×4, first 2 shown]
	v_add3_u32 v1, v1, v3, v2
	v_lshlrev_b64 v[2:3], 2, v[8:9]
	ds_read2_b32 v[8:9], v20 offset1:132
	v_mov_b32_e32 v5, v11
	ds_read2_b32 v[14:15], v14 offset0:8 offset1:140
	v_lshlrev_b64 v[0:1], 2, v[0:1]
	v_lshlrev_b64 v[12:13], 2, v[10:11]
	v_mov_b32_e32 v7, v11
	v_mov_b32_e32 v19, v11
	v_add_co_u32 v0, vcc_lo, s10, v0
	v_add_co_ci_u32_e32 v1, vcc_lo, s11, v1, vcc_lo
	v_lshlrev_b64 v[6:7], 2, v[6:7]
	v_add_co_u32 v0, vcc_lo, v0, v2
	v_add_co_ci_u32_e32 v1, vcc_lo, v1, v3, vcc_lo
	v_lshlrev_b64 v[2:3], 2, v[4:5]
	v_add_co_u32 v4, vcc_lo, v0, v12
	v_add_co_ci_u32_e32 v5, vcc_lo, v1, v13, vcc_lo
	v_add_nc_u32_e32 v12, 0x18c, v10
	v_add_co_u32 v2, vcc_lo, v0, v2
	v_add_co_ci_u32_e32 v3, vcc_lo, v1, v3, vcc_lo
	v_add_co_u32 v6, vcc_lo, v0, v6
	v_add_co_ci_u32_e32 v7, vcc_lo, v1, v7, vcc_lo
	v_mov_b32_e32 v13, v11
	s_waitcnt lgkmcnt(1)
	global_store_dword v[4:5], v8, off
	global_store_dword v[2:3], v9, off
	s_waitcnt lgkmcnt(0)
	global_store_dword v[6:7], v14, off
	v_add_nc_u32_e32 v8, 0x800, v20
	v_add_nc_u32_e32 v4, 0x210, v10
	v_mov_b32_e32 v5, v11
	v_lshlrev_b64 v[2:3], 2, v[12:13]
	v_add_nc_u32_e32 v13, 0xc00, v20
	ds_read2_b32 v[8:9], v8 offset0:16 offset1:148
	v_add_nc_u32_e32 v6, 0x294, v10
	v_mov_b32_e32 v7, v11
	v_lshlrev_b64 v[4:5], 2, v[4:5]
	ds_read2_b32 v[16:17], v13 offset0:24 offset1:156
	v_add_nc_u32_e32 v12, 0x318, v10
	v_mov_b32_e32 v13, v11
	v_add_co_u32 v2, vcc_lo, v0, v2
	v_lshlrev_b64 v[6:7], 2, v[6:7]
	v_add_co_ci_u32_e32 v3, vcc_lo, v1, v3, vcc_lo
	v_add_co_u32 v4, vcc_lo, v0, v4
	v_lshlrev_b64 v[12:13], 2, v[12:13]
	v_add_co_ci_u32_e32 v5, vcc_lo, v1, v5, vcc_lo
	v_add_co_u32 v6, vcc_lo, v0, v6
	v_add_co_ci_u32_e32 v7, vcc_lo, v1, v7, vcc_lo
	v_add_co_u32 v12, vcc_lo, v0, v12
	v_add_co_ci_u32_e32 v13, vcc_lo, v1, v13, vcc_lo
	global_store_dword v[2:3], v15, off
	s_waitcnt lgkmcnt(1)
	global_store_dword v[4:5], v8, off
	global_store_dword v[6:7], v9, off
	s_waitcnt lgkmcnt(0)
	global_store_dword v[12:13], v16, off
	v_add_nc_u32_e32 v4, 0x420, v10
	v_mov_b32_e32 v5, v11
	v_add_nc_u32_e32 v8, 0x1000, v20
	v_lshlrev_b64 v[2:3], 2, v[18:19]
	v_add_nc_u32_e32 v6, 0x4a4, v10
	v_mov_b32_e32 v7, v11
	v_lshlrev_b64 v[4:5], 2, v[4:5]
	ds_read2_b32 v[8:9], v8 offset0:32 offset1:164
	v_add_nc_u32_e32 v12, 0x528, v10
	v_mov_b32_e32 v13, v11
	v_add_co_u32 v2, vcc_lo, v0, v2
	v_lshlrev_b64 v[6:7], 2, v[6:7]
	ds_read_b32 v14, v20 offset:5280
	v_add_co_ci_u32_e32 v3, vcc_lo, v1, v3, vcc_lo
	v_add_co_u32 v4, vcc_lo, v0, v4
	v_lshlrev_b64 v[12:13], 2, v[12:13]
	v_add_co_ci_u32_e32 v5, vcc_lo, v1, v5, vcc_lo
	v_add_co_u32 v6, vcc_lo, v0, v6
	v_add_co_ci_u32_e32 v7, vcc_lo, v1, v7, vcc_lo
	v_add_co_u32 v12, vcc_lo, v0, v12
	v_add_co_ci_u32_e32 v13, vcc_lo, v1, v13, vcc_lo
	v_cmp_eq_u32_e32 vcc_lo, 0x83, v10
	global_store_dword v[2:3], v17, off
	s_waitcnt lgkmcnt(1)
	global_store_dword v[4:5], v8, off
	global_store_dword v[6:7], v9, off
	s_waitcnt lgkmcnt(0)
	global_store_dword v[12:13], v14, off
	s_and_b32 exec_lo, exec_lo, vcc_lo
	s_cbranch_execz .LBB0_30
; %bb.29:
	ds_read_b32 v2, v11 offset:5808
	v_add_co_u32 v0, vcc_lo, 0x1000, v0
	v_add_co_ci_u32_e32 v1, vcc_lo, 0, v1, vcc_lo
	s_waitcnt lgkmcnt(0)
	global_store_dword v[0:1], v2, off offset:1712
.LBB0_30:
	s_endpgm
	.section	.rodata,"a",@progbits
	.p2align	6, 0x0
	.amdhsa_kernel fft_rtc_back_len1452_factors_11_3_11_4_wgs_132_tpt_132_halfLds_half_op_CI_CI_unitstride_sbrr_R2C_dirReg
		.amdhsa_group_segment_fixed_size 0
		.amdhsa_private_segment_fixed_size 0
		.amdhsa_kernarg_size 104
		.amdhsa_user_sgpr_count 6
		.amdhsa_user_sgpr_private_segment_buffer 1
		.amdhsa_user_sgpr_dispatch_ptr 0
		.amdhsa_user_sgpr_queue_ptr 0
		.amdhsa_user_sgpr_kernarg_segment_ptr 1
		.amdhsa_user_sgpr_dispatch_id 0
		.amdhsa_user_sgpr_flat_scratch_init 0
		.amdhsa_user_sgpr_private_segment_size 0
		.amdhsa_wavefront_size32 1
		.amdhsa_uses_dynamic_stack 0
		.amdhsa_system_sgpr_private_segment_wavefront_offset 0
		.amdhsa_system_sgpr_workgroup_id_x 1
		.amdhsa_system_sgpr_workgroup_id_y 0
		.amdhsa_system_sgpr_workgroup_id_z 0
		.amdhsa_system_sgpr_workgroup_info 0
		.amdhsa_system_vgpr_workitem_id 0
		.amdhsa_next_free_vgpr 137
		.amdhsa_next_free_sgpr 27
		.amdhsa_reserve_vcc 1
		.amdhsa_reserve_flat_scratch 0
		.amdhsa_float_round_mode_32 0
		.amdhsa_float_round_mode_16_64 0
		.amdhsa_float_denorm_mode_32 3
		.amdhsa_float_denorm_mode_16_64 3
		.amdhsa_dx10_clamp 1
		.amdhsa_ieee_mode 1
		.amdhsa_fp16_overflow 0
		.amdhsa_workgroup_processor_mode 1
		.amdhsa_memory_ordered 1
		.amdhsa_forward_progress 0
		.amdhsa_shared_vgpr_count 0
		.amdhsa_exception_fp_ieee_invalid_op 0
		.amdhsa_exception_fp_denorm_src 0
		.amdhsa_exception_fp_ieee_div_zero 0
		.amdhsa_exception_fp_ieee_overflow 0
		.amdhsa_exception_fp_ieee_underflow 0
		.amdhsa_exception_fp_ieee_inexact 0
		.amdhsa_exception_int_div_zero 0
	.end_amdhsa_kernel
	.text
.Lfunc_end0:
	.size	fft_rtc_back_len1452_factors_11_3_11_4_wgs_132_tpt_132_halfLds_half_op_CI_CI_unitstride_sbrr_R2C_dirReg, .Lfunc_end0-fft_rtc_back_len1452_factors_11_3_11_4_wgs_132_tpt_132_halfLds_half_op_CI_CI_unitstride_sbrr_R2C_dirReg
                                        ; -- End function
	.section	.AMDGPU.csdata,"",@progbits
; Kernel info:
; codeLenInByte = 11060
; NumSgprs: 29
; NumVgprs: 137
; ScratchSize: 0
; MemoryBound: 0
; FloatMode: 240
; IeeeMode: 1
; LDSByteSize: 0 bytes/workgroup (compile time only)
; SGPRBlocks: 3
; VGPRBlocks: 17
; NumSGPRsForWavesPerEU: 29
; NumVGPRsForWavesPerEU: 137
; Occupancy: 7
; WaveLimiterHint : 1
; COMPUTE_PGM_RSRC2:SCRATCH_EN: 0
; COMPUTE_PGM_RSRC2:USER_SGPR: 6
; COMPUTE_PGM_RSRC2:TRAP_HANDLER: 0
; COMPUTE_PGM_RSRC2:TGID_X_EN: 1
; COMPUTE_PGM_RSRC2:TGID_Y_EN: 0
; COMPUTE_PGM_RSRC2:TGID_Z_EN: 0
; COMPUTE_PGM_RSRC2:TIDIG_COMP_CNT: 0
	.text
	.p2alignl 6, 3214868480
	.fill 48, 4, 3214868480
	.type	__hip_cuid_6cdca4444c88f4cb,@object ; @__hip_cuid_6cdca4444c88f4cb
	.section	.bss,"aw",@nobits
	.globl	__hip_cuid_6cdca4444c88f4cb
__hip_cuid_6cdca4444c88f4cb:
	.byte	0                               ; 0x0
	.size	__hip_cuid_6cdca4444c88f4cb, 1

	.ident	"AMD clang version 19.0.0git (https://github.com/RadeonOpenCompute/llvm-project roc-6.4.0 25133 c7fe45cf4b819c5991fe208aaa96edf142730f1d)"
	.section	".note.GNU-stack","",@progbits
	.addrsig
	.addrsig_sym __hip_cuid_6cdca4444c88f4cb
	.amdgpu_metadata
---
amdhsa.kernels:
  - .args:
      - .actual_access:  read_only
        .address_space:  global
        .offset:         0
        .size:           8
        .value_kind:     global_buffer
      - .offset:         8
        .size:           8
        .value_kind:     by_value
      - .actual_access:  read_only
        .address_space:  global
        .offset:         16
        .size:           8
        .value_kind:     global_buffer
      - .actual_access:  read_only
        .address_space:  global
        .offset:         24
        .size:           8
        .value_kind:     global_buffer
      - .actual_access:  read_only
        .address_space:  global
        .offset:         32
        .size:           8
        .value_kind:     global_buffer
      - .offset:         40
        .size:           8
        .value_kind:     by_value
      - .actual_access:  read_only
        .address_space:  global
        .offset:         48
        .size:           8
        .value_kind:     global_buffer
      - .actual_access:  read_only
        .address_space:  global
        .offset:         56
        .size:           8
        .value_kind:     global_buffer
      - .offset:         64
        .size:           4
        .value_kind:     by_value
      - .actual_access:  read_only
        .address_space:  global
        .offset:         72
        .size:           8
        .value_kind:     global_buffer
      - .actual_access:  read_only
        .address_space:  global
        .offset:         80
        .size:           8
        .value_kind:     global_buffer
      - .actual_access:  read_only
        .address_space:  global
        .offset:         88
        .size:           8
        .value_kind:     global_buffer
      - .actual_access:  write_only
        .address_space:  global
        .offset:         96
        .size:           8
        .value_kind:     global_buffer
    .group_segment_fixed_size: 0
    .kernarg_segment_align: 8
    .kernarg_segment_size: 104
    .language:       OpenCL C
    .language_version:
      - 2
      - 0
    .max_flat_workgroup_size: 132
    .name:           fft_rtc_back_len1452_factors_11_3_11_4_wgs_132_tpt_132_halfLds_half_op_CI_CI_unitstride_sbrr_R2C_dirReg
    .private_segment_fixed_size: 0
    .sgpr_count:     29
    .sgpr_spill_count: 0
    .symbol:         fft_rtc_back_len1452_factors_11_3_11_4_wgs_132_tpt_132_halfLds_half_op_CI_CI_unitstride_sbrr_R2C_dirReg.kd
    .uniform_work_group_size: 1
    .uses_dynamic_stack: false
    .vgpr_count:     137
    .vgpr_spill_count: 0
    .wavefront_size: 32
    .workgroup_processor_mode: 1
amdhsa.target:   amdgcn-amd-amdhsa--gfx1030
amdhsa.version:
  - 1
  - 2
...

	.end_amdgpu_metadata
